;; amdgpu-corpus repo=ROCm/rocFFT kind=compiled arch=gfx1030 opt=O3
	.text
	.amdgcn_target "amdgcn-amd-amdhsa--gfx1030"
	.amdhsa_code_object_version 6
	.protected	bluestein_single_back_len3200_dim1_dp_op_CI_CI ; -- Begin function bluestein_single_back_len3200_dim1_dp_op_CI_CI
	.globl	bluestein_single_back_len3200_dim1_dp_op_CI_CI
	.p2align	8
	.type	bluestein_single_back_len3200_dim1_dp_op_CI_CI,@function
bluestein_single_back_len3200_dim1_dp_op_CI_CI: ; @bluestein_single_back_len3200_dim1_dp_op_CI_CI
; %bb.0:
	s_load_dwordx4 s[16:19], s[4:5], 0x28
	v_mul_u32_u24_e32 v1, 0x19a, v0
	s_mov_b64 s[30:31], s[2:3]
	s_mov_b64 s[28:29], s[0:1]
	v_mov_b32_e32 v3, 0
	s_add_u32 s28, s28, s7
	v_lshrrev_b32_e32 v1, 16, v1
	s_addc_u32 s29, s29, 0
	s_mov_b32 s0, exec_lo
	v_add_nc_u32_e32 v2, s6, v1
	s_waitcnt lgkmcnt(0)
	v_cmpx_gt_u64_e64 s[16:17], v[2:3]
	s_cbranch_execz .LBB0_2
; %bb.1:
	s_clause 0x1
	s_load_dwordx4 s[0:3], s[4:5], 0x18
	s_load_dwordx4 s[8:11], s[4:5], 0x0
	v_mov_b32_e32 v6, v2
	v_mul_lo_u16 v1, 0xa0, v1
	s_mov_b32 s17, 0xbfee6f0e
	s_mov_b32 s22, 0x9b97f4a8
	;; [unrolled: 1-line block ×4, first 2 shown]
	v_sub_nc_u16 v136, v0, v1
	s_mov_b32 s20, s22
	s_load_dwordx2 s[4:5], s[4:5], 0x38
	v_and_b32_e32 v190, 0xffff, v136
	v_lshlrev_b32_e32 v40, 4, v190
	s_waitcnt lgkmcnt(0)
	s_load_dwordx4 s[12:15], s[0:1], 0x0
	buffer_store_dword v6, off, s[28:31], 0 offset:632 ; 4-byte Folded Spill
	buffer_store_dword v7, off, s[28:31], 0 offset:636 ; 4-byte Folded Spill
	s_add_u32 s24, s8, 0xc800
	v_add_co_u32 v41, s0, s8, v40
	v_add_co_ci_u32_e64 v42, null, s9, 0, s0
	s_addc_u32 s25, s9, 0
	s_waitcnt lgkmcnt(0)
	v_mad_u64_u32 v[4:5], null, s12, v190, 0
	s_mul_i32 s0, s13, 0x1400
	s_mul_hi_u32 s6, s12, 0x1400
	s_mul_i32 s1, s12, 0x1400
	s_add_i32 s0, s6, s0
	s_mul_i32 s6, s13, 0x2800
	v_mov_b32_e32 v1, v5
	v_mad_u64_u32 v[2:3], null, s14, v6, 0
	v_mov_b32_e32 v0, v3
	v_or_b32_e32 v3, 0x500, v190
	v_mad_u64_u32 v[5:6], null, s15, v6, v[0:1]
	v_mad_u64_u32 v[6:7], null, s13, v190, v[1:2]
	;; [unrolled: 1-line block ×3, first 2 shown]
	v_mov_b32_e32 v7, v3
	s_mov_b32 s14, 0x134454ff
	v_mov_b32_e32 v3, v5
	s_mov_b32 s15, 0x3fee6f0e
	v_mov_b32_e32 v5, v6
	v_mov_b32_e32 v8, v7
	s_mov_b32 s16, s14
	v_lshlrev_b64 v[2:3], 4, v[2:3]
	v_lshlrev_b64 v[4:5], 4, v[4:5]
	buffer_store_dword v8, off, s[28:31], 0 offset:4 ; 4-byte Folded Spill
	v_lshlrev_b32_e32 v130, 4, v8
	v_add_co_u32 v13, vcc_lo, s18, v2
	v_add_co_ci_u32_e32 v16, vcc_lo, s19, v3, vcc_lo
	v_mad_u64_u32 v[1:2], null, s13, v7, v[1:2]
	v_add_co_u32 v14, vcc_lo, v13, v4
	v_add_co_ci_u32_e32 v15, vcc_lo, v16, v5, vcc_lo
	v_or_b32_e32 v7, 0xa00, v190
	global_load_dwordx4 v[59:62], v40, s[8:9]
	global_load_dwordx4 v[2:5], v[14:15], off
	v_lshlrev_b64 v[0:1], 4, v[0:1]
	s_mov_b32 s19, 0xbfd3c6ef
	v_mad_u64_u32 v[10:11], null, s12, v7, 0
	v_add_co_u32 v0, vcc_lo, v13, v0
	v_add_co_ci_u32_e32 v1, vcc_lo, v16, v1, vcc_lo
	v_mov_b32_e32 v6, v11
	v_mad_u64_u32 v[11:12], null, s13, v7, v[6:7]
	v_mov_b32_e32 v12, v7
	buffer_store_dword v12, off, s[28:31], 0 ; 4-byte Folded Spill
	global_load_dwordx4 v[34:37], v130, s[8:9]
	global_load_dwordx4 v[6:9], v[0:1], off
	v_lshlrev_b64 v[0:1], 4, v[10:11]
	v_lshlrev_b32_e32 v131, 4, v12
	v_add_co_u32 v0, vcc_lo, v13, v0
	v_add_co_ci_u32_e32 v1, vcc_lo, v16, v1, vcc_lo
	global_load_dwordx4 v[43:46], v131, s[8:9]
	global_load_dwordx4 v[10:13], v[0:1], off
	v_add_co_u32 v0, vcc_lo, 0x1000, v41
	v_add_co_ci_u32_e32 v1, vcc_lo, 0, v42, vcc_lo
	v_add_co_u32 v18, vcc_lo, v14, s1
	v_add_co_ci_u32_e32 v19, vcc_lo, s0, v15, vcc_lo
	global_load_dwordx4 v[47:50], v[0:1], off offset:1024
	global_load_dwordx4 v[14:17], v[18:19], off
	v_add_co_u32 v0, vcc_lo, 0x2800, v41
	v_add_co_ci_u32_e32 v1, vcc_lo, 0, v42, vcc_lo
	v_add_co_u32 v22, vcc_lo, v18, s1
	v_add_co_ci_u32_e32 v23, vcc_lo, s0, v19, vcc_lo
	global_load_dwordx4 v[51:54], v[0:1], off
	global_load_dwordx4 v[18:21], v[22:23], off
	v_add_co_u32 v0, vcc_lo, 0x3800, v41
	v_add_co_ci_u32_e32 v1, vcc_lo, 0, v42, vcc_lo
	v_add_co_u32 v26, vcc_lo, v22, s1
	v_add_co_ci_u32_e32 v27, vcc_lo, s0, v23, vcc_lo
	global_load_dwordx4 v[55:58], v[0:1], off offset:1024
	global_load_dwordx4 v[22:25], v[26:27], off
	s_mov_b32 s8, 0x372fe950
	s_mov_b32 s9, 0x3fd3c6ef
	;; [unrolled: 1-line block ×3, first 2 shown]
	s_waitcnt vmcnt(11)
	buffer_store_dword v59, off, s[28:31], 0 offset:312 ; 4-byte Folded Spill
	buffer_store_dword v60, off, s[28:31], 0 offset:316 ; 4-byte Folded Spill
	buffer_store_dword v61, off, s[28:31], 0 offset:320 ; 4-byte Folded Spill
	buffer_store_dword v62, off, s[28:31], 0 offset:324 ; 4-byte Folded Spill
	s_waitcnt vmcnt(9)
	buffer_store_dword v34, off, s[28:31], 0 offset:40 ; 4-byte Folded Spill
	buffer_store_dword v35, off, s[28:31], 0 offset:44 ; 4-byte Folded Spill
	buffer_store_dword v36, off, s[28:31], 0 offset:48 ; 4-byte Folded Spill
	buffer_store_dword v37, off, s[28:31], 0 offset:52 ; 4-byte Folded Spill
	;; [unrolled: 5-line block ×5, first 2 shown]
	v_mul_f64 v[0:1], v[4:5], v[61:62]
	v_mul_f64 v[28:29], v[2:3], v[61:62]
	v_fma_f64 v[0:1], v[2:3], v[59:60], v[0:1]
	v_fma_f64 v[2:3], v[4:5], v[59:60], -v[28:29]
	v_mul_f64 v[30:31], v[8:9], v[36:37]
	v_mul_f64 v[28:29], v[6:7], v[36:37]
	;; [unrolled: 1-line block ×3, first 2 shown]
	v_fma_f64 v[4:5], v[6:7], v[34:35], v[30:31]
	v_fma_f64 v[6:7], v[8:9], v[34:35], -v[28:29]
	v_mul_f64 v[28:29], v[10:11], v[45:46]
	v_mul_f64 v[30:31], v[16:17], v[49:50]
	v_fma_f64 v[8:9], v[10:11], v[43:44], v[32:33]
	s_waitcnt vmcnt(2)
	v_mul_f64 v[32:33], v[20:21], v[53:54]
	v_fma_f64 v[10:11], v[12:13], v[43:44], -v[28:29]
	v_mul_f64 v[28:29], v[14:15], v[49:50]
	v_fma_f64 v[12:13], v[14:15], v[47:48], v[30:31]
	s_waitcnt vmcnt(0)
	v_mul_f64 v[30:31], v[24:25], v[57:58]
	v_fma_f64 v[14:15], v[16:17], v[47:48], -v[28:29]
	v_mul_f64 v[28:29], v[18:19], v[53:54]
	v_fma_f64 v[16:17], v[18:19], v[51:52], v[32:33]
	v_mad_u64_u32 v[32:33], null, 0x2800, s12, v[26:27]
	v_add_co_u32 v26, vcc_lo, 0x6000, v41
	v_add_co_ci_u32_e32 v27, vcc_lo, 0, v42, vcc_lo
	v_add_nc_u32_e32 v33, s6, v33
	v_fma_f64 v[18:19], v[20:21], v[51:52], -v[28:29]
	v_mul_f64 v[28:29], v[22:23], v[57:58]
	buffer_store_dword v55, off, s[28:31], 0 offset:104 ; 4-byte Folded Spill
	buffer_store_dword v56, off, s[28:31], 0 offset:108 ; 4-byte Folded Spill
	;; [unrolled: 1-line block ×4, first 2 shown]
	global_load_dwordx4 v[34:37], v[26:27], off offset:1024
	s_waitcnt vmcnt(0)
	buffer_store_dword v34, off, s[28:31], 0 offset:88 ; 4-byte Folded Spill
	buffer_store_dword v35, off, s[28:31], 0 offset:92 ; 4-byte Folded Spill
	;; [unrolled: 1-line block ×4, first 2 shown]
	v_fma_f64 v[20:21], v[22:23], v[55:56], v[30:31]
	v_fma_f64 v[22:23], v[24:25], v[55:56], -v[28:29]
	global_load_dwordx4 v[24:27], v[32:33], off
	v_add_co_u32 v32, vcc_lo, v32, s1
	v_add_co_ci_u32_e32 v33, vcc_lo, s0, v33, vcc_lo
	s_waitcnt vmcnt(0)
	v_mul_f64 v[28:29], v[26:27], v[36:37]
	v_mul_f64 v[30:31], v[24:25], v[36:37]
	v_fma_f64 v[24:25], v[24:25], v[34:35], v[28:29]
	v_add_co_u32 v28, vcc_lo, 0x7800, v41
	v_add_co_ci_u32_e32 v29, vcc_lo, 0, v42, vcc_lo
	v_fma_f64 v[26:27], v[26:27], v[34:35], -v[30:31]
	global_load_dwordx4 v[43:46], v[28:29], off
	s_waitcnt vmcnt(0)
	buffer_store_dword v43, off, s[28:31], 0 offset:120 ; 4-byte Folded Spill
	buffer_store_dword v44, off, s[28:31], 0 offset:124 ; 4-byte Folded Spill
	;; [unrolled: 1-line block ×4, first 2 shown]
	global_load_dwordx4 v[28:31], v[32:33], off
	s_waitcnt vmcnt(0)
	v_mul_f64 v[36:37], v[28:29], v[45:46]
	v_mul_f64 v[34:35], v[30:31], v[45:46]
	v_fma_f64 v[30:31], v[30:31], v[43:44], -v[36:37]
	v_add_co_u32 v36, vcc_lo, v32, s1
	v_add_co_ci_u32_e32 v37, vcc_lo, s0, v33, vcc_lo
	v_add_co_u32 v32, vcc_lo, 0x8800, v41
	v_add_co_ci_u32_e32 v33, vcc_lo, 0, v42, vcc_lo
	v_fma_f64 v[28:29], v[28:29], v[43:44], v[34:35]
	global_load_dwordx4 v[45:48], v[32:33], off offset:1024
	s_waitcnt vmcnt(0)
	buffer_store_dword v45, off, s[28:31], 0 offset:136 ; 4-byte Folded Spill
	buffer_store_dword v46, off, s[28:31], 0 offset:140 ; 4-byte Folded Spill
	;; [unrolled: 1-line block ×4, first 2 shown]
	global_load_dwordx4 v[32:35], v[36:37], off
	s_waitcnt vmcnt(0)
	v_mul_f64 v[43:44], v[32:33], v[47:48]
	v_mul_f64 v[38:39], v[34:35], v[47:48]
	v_fma_f64 v[34:35], v[34:35], v[45:46], -v[43:44]
	v_mad_u64_u32 v[43:44], null, 0x2800, s12, v[36:37]
	v_add_co_u32 v36, vcc_lo, 0xb000, v41
	v_add_co_ci_u32_e32 v37, vcc_lo, 0, v42, vcc_lo
	v_add_nc_u32_e32 v44, s6, v44
	global_load_dwordx4 v[49:52], v[36:37], off offset:1024
	v_fma_f64 v[32:33], v[32:33], v[45:46], v[38:39]
	s_mul_i32 s6, s13, 0xffff5600
	s_mov_b32 s13, 0xbfe2cf23
	s_sub_i32 s6, s6, s12
	s_waitcnt vmcnt(0)
	buffer_store_dword v49, off, s[28:31], 0 offset:152 ; 4-byte Folded Spill
	buffer_store_dword v50, off, s[28:31], 0 offset:156 ; 4-byte Folded Spill
	;; [unrolled: 1-line block ×4, first 2 shown]
	global_load_dwordx4 v[36:39], v[43:44], off
	s_waitcnt vmcnt(0)
	v_mul_f64 v[47:48], v[36:37], v[51:52]
	v_mul_f64 v[45:46], v[38:39], v[51:52]
	v_fma_f64 v[38:39], v[38:39], v[49:50], -v[47:48]
	v_mad_u64_u32 v[47:48], null, 0xffff5600, s12, v[43:44]
	v_add_co_u32 v43, vcc_lo, 0x800, v41
	v_add_co_ci_u32_e32 v44, vcc_lo, 0, v42, vcc_lo
	v_add_nc_u32_e32 v48, s6, v48
	global_load_dwordx4 v[53:56], v[43:44], off offset:512
	v_fma_f64 v[36:37], v[36:37], v[49:50], v[45:46]
	s_mov_b32 s6, 0x4755a5e
	s_mov_b32 s7, 0x3fe2cf23
	;; [unrolled: 1-line block ×3, first 2 shown]
	s_waitcnt vmcnt(0)
	buffer_store_dword v53, off, s[28:31], 0 offset:168 ; 4-byte Folded Spill
	buffer_store_dword v54, off, s[28:31], 0 offset:172 ; 4-byte Folded Spill
	;; [unrolled: 1-line block ×4, first 2 shown]
	global_load_dwordx4 v[43:46], v[47:48], off
	s_waitcnt vmcnt(0)
	v_mul_f64 v[51:52], v[43:44], v[55:56]
	v_mul_f64 v[49:50], v[45:46], v[55:56]
	v_fma_f64 v[45:46], v[45:46], v[53:54], -v[51:52]
	v_add_co_u32 v51, vcc_lo, v47, s1
	v_add_co_ci_u32_e32 v52, vcc_lo, s0, v48, vcc_lo
	v_add_co_u32 v47, vcc_lo, 0x1800, v41
	v_add_co_ci_u32_e32 v48, vcc_lo, 0, v42, vcc_lo
	global_load_dwordx4 v[57:60], v[47:48], off offset:1536
	v_fma_f64 v[43:44], v[43:44], v[53:54], v[49:50]
	s_waitcnt vmcnt(0)
	buffer_store_dword v57, off, s[28:31], 0 offset:184 ; 4-byte Folded Spill
	buffer_store_dword v58, off, s[28:31], 0 offset:188 ; 4-byte Folded Spill
	;; [unrolled: 1-line block ×4, first 2 shown]
	global_load_dwordx4 v[47:50], v[51:52], off
	s_waitcnt vmcnt(0)
	v_mul_f64 v[55:56], v[47:48], v[59:60]
	v_mul_f64 v[53:54], v[49:50], v[59:60]
	v_fma_f64 v[49:50], v[49:50], v[57:58], -v[55:56]
	v_add_co_u32 v55, vcc_lo, v51, s1
	v_add_co_ci_u32_e32 v56, vcc_lo, s0, v52, vcc_lo
	v_add_co_u32 v51, vcc_lo, 0x3000, v41
	v_add_co_ci_u32_e32 v52, vcc_lo, 0, v42, vcc_lo
	v_fma_f64 v[47:48], v[47:48], v[57:58], v[53:54]
	global_load_dwordx4 v[61:64], v[51:52], off offset:512
	global_load_dwordx4 v[51:54], v[55:56], off
	s_waitcnt vmcnt(1)
	buffer_store_dword v61, off, s[28:31], 0 offset:200 ; 4-byte Folded Spill
	buffer_store_dword v62, off, s[28:31], 0 offset:204 ; 4-byte Folded Spill
	;; [unrolled: 1-line block ×4, first 2 shown]
	s_waitcnt vmcnt(0)
	v_mul_f64 v[59:60], v[51:52], v[63:64]
	v_mul_f64 v[57:58], v[53:54], v[63:64]
	v_fma_f64 v[53:54], v[53:54], v[61:62], -v[59:60]
	v_add_co_u32 v59, vcc_lo, v55, s1
	v_add_co_ci_u32_e32 v60, vcc_lo, s0, v56, vcc_lo
	v_add_co_u32 v55, vcc_lo, 0x4000, v41
	v_add_co_ci_u32_e32 v56, vcc_lo, 0, v42, vcc_lo
	v_fma_f64 v[51:52], v[51:52], v[61:62], v[57:58]
	global_load_dwordx4 v[65:68], v[55:56], off offset:1536
	s_waitcnt vmcnt(0)
	buffer_store_dword v65, off, s[28:31], 0 offset:216 ; 4-byte Folded Spill
	buffer_store_dword v66, off, s[28:31], 0 offset:220 ; 4-byte Folded Spill
	buffer_store_dword v67, off, s[28:31], 0 offset:224 ; 4-byte Folded Spill
	buffer_store_dword v68, off, s[28:31], 0 offset:228 ; 4-byte Folded Spill
	global_load_dwordx4 v[55:58], v[59:60], off
	s_waitcnt vmcnt(0)
	v_mul_f64 v[63:64], v[55:56], v[67:68]
	v_mul_f64 v[61:62], v[57:58], v[67:68]
	v_fma_f64 v[57:58], v[57:58], v[65:66], -v[63:64]
	v_add_co_u32 v63, vcc_lo, v59, s1
	v_add_co_ci_u32_e32 v64, vcc_lo, s0, v60, vcc_lo
	v_add_co_u32 v59, vcc_lo, 0x5800, v41
	v_add_co_ci_u32_e32 v60, vcc_lo, 0, v42, vcc_lo
	global_load_dwordx4 v[69:72], v[59:60], off offset:512
	v_fma_f64 v[55:56], v[55:56], v[65:66], v[61:62]
	s_waitcnt vmcnt(0)
	buffer_store_dword v69, off, s[28:31], 0 offset:232 ; 4-byte Folded Spill
	buffer_store_dword v70, off, s[28:31], 0 offset:236 ; 4-byte Folded Spill
	buffer_store_dword v71, off, s[28:31], 0 offset:240 ; 4-byte Folded Spill
	buffer_store_dword v72, off, s[28:31], 0 offset:244 ; 4-byte Folded Spill
	global_load_dwordx4 v[59:62], v[63:64], off
	s_waitcnt vmcnt(0)
	v_mul_f64 v[67:68], v[59:60], v[71:72]
	v_mul_f64 v[65:66], v[61:62], v[71:72]
	v_fma_f64 v[61:62], v[61:62], v[69:70], -v[67:68]
	v_add_co_u32 v67, vcc_lo, v63, s1
	v_add_co_ci_u32_e32 v68, vcc_lo, s0, v64, vcc_lo
	v_add_co_u32 v63, vcc_lo, 0x6800, v41
	v_add_co_ci_u32_e32 v64, vcc_lo, 0, v42, vcc_lo
	global_load_dwordx4 v[73:76], v[63:64], off offset:1536
	v_fma_f64 v[59:60], v[59:60], v[69:70], v[65:66]
	;; [unrolled: 16-line block ×5, first 2 shown]
	s_waitcnt vmcnt(0)
	buffer_store_dword v85, off, s[28:31], 0 offset:296 ; 4-byte Folded Spill
	buffer_store_dword v86, off, s[28:31], 0 offset:300 ; 4-byte Folded Spill
	;; [unrolled: 1-line block ×4, first 2 shown]
	global_load_dwordx4 v[75:78], v[79:80], off
	v_add_co_u32 v79, vcc_lo, v79, s1
	v_add_co_ci_u32_e32 v80, vcc_lo, s0, v80, vcc_lo
	v_add_co_u32 v41, vcc_lo, 0xb800, v41
	v_add_co_ci_u32_e32 v42, vcc_lo, 0, v42, vcc_lo
	v_cmp_gt_u16_e32 vcc_lo, 0x64, v136
	s_waitcnt vmcnt(0)
	v_mul_f64 v[81:82], v[77:78], v[87:88]
	v_mul_f64 v[83:84], v[75:76], v[87:88]
	v_fma_f64 v[75:76], v[75:76], v[85:86], v[81:82]
	v_fma_f64 v[77:78], v[77:78], v[85:86], -v[83:84]
	global_load_dwordx4 v[85:88], v[41:42], off offset:1536
	s_waitcnt vmcnt(0)
	buffer_store_dword v85, off, s[28:31], 0 offset:8 ; 4-byte Folded Spill
	buffer_store_dword v86, off, s[28:31], 0 offset:12 ; 4-byte Folded Spill
	;; [unrolled: 1-line block ×4, first 2 shown]
	global_load_dwordx4 v[79:82], v[79:80], off
	s_waitcnt vmcnt(0)
	v_mul_f64 v[41:42], v[81:82], v[87:88]
	v_mul_f64 v[83:84], v[79:80], v[87:88]
	v_fma_f64 v[79:80], v[79:80], v[85:86], v[41:42]
	v_fma_f64 v[81:82], v[81:82], v[85:86], -v[83:84]
	ds_write_b128 v40, v[0:3]
	ds_write_b128 v40, v[4:7] offset:20480
	ds_write_b128 v40, v[8:11] offset:40960
	;; [unrolled: 1-line block ×19, first 2 shown]
	s_load_dwordx4 s[0:3], s[2:3], 0x0
	s_waitcnt lgkmcnt(0)
	s_waitcnt_vscnt null, 0x0
	s_barrier
	buffer_gl0_inv
	ds_read_b128 v[0:3], v40
	ds_read_b128 v[4:7], v40 offset:10240
	ds_read_b128 v[8:11], v40 offset:20480
	v_mul_lo_u16 v41, v136, 10
	s_waitcnt lgkmcnt(1)
	v_add_f64 v[12:13], v[0:1], v[4:5]
	s_waitcnt lgkmcnt(0)
	v_add_f64 v[64:65], v[4:5], -v[8:9]
	v_add_f64 v[48:49], v[8:9], -v[4:5]
	;; [unrolled: 1-line block ×4, first 2 shown]
	v_add_f64 v[16:17], v[12:13], v[8:9]
	v_add_f64 v[12:13], v[2:3], v[6:7]
	;; [unrolled: 1-line block ×3, first 2 shown]
	ds_read_b128 v[12:15], v40 offset:30720
	s_waitcnt lgkmcnt(0)
	v_add_f64 v[84:85], v[8:9], v[12:13]
	v_add_f64 v[20:21], v[10:11], -v[14:15]
	v_add_f64 v[86:87], v[10:11], v[14:15]
	v_add_f64 v[22:23], v[8:9], -v[12:13]
	ds_read_b128 v[8:11], v40 offset:40960
	s_waitcnt lgkmcnt(0)
	v_add_f64 v[24:25], v[6:7], -v[10:11]
	v_add_f64 v[90:91], v[4:5], v[8:9]
	v_add_f64 v[26:27], v[4:5], -v[8:9]
	v_add_f64 v[94:95], v[6:7], v[10:11]
	v_add_f64 v[4:5], v[16:17], v[12:13]
	;; [unrolled: 1-line block ×3, first 2 shown]
	v_add_f64 v[72:73], v[8:9], -v[12:13]
	v_add_f64 v[56:57], v[12:13], -v[8:9]
	;; [unrolled: 1-line block ×4, first 2 shown]
	v_fma_f64 v[90:91], v[90:91], -0.5, v[0:1]
	v_fma_f64 v[94:95], v[94:95], -0.5, v[2:3]
	v_add_f64 v[88:89], v[4:5], v[8:9]
	v_add_f64 v[92:93], v[6:7], v[10:11]
	ds_read_b128 v[4:7], v40 offset:5120
	ds_read_b128 v[8:11], v40 offset:15360
	;; [unrolled: 1-line block ×3, first 2 shown]
	v_add_f64 v[74:75], v[66:67], v[74:75]
	v_add_f64 v[72:73], v[64:65], v[72:73]
	v_add_f64 v[48:49], v[48:49], v[56:57]
	v_add_f64 v[52:53], v[52:53], v[58:59]
	s_waitcnt lgkmcnt(1)
	v_add_f64 v[16:17], v[4:5], v[8:9]
	s_waitcnt lgkmcnt(0)
	v_add_f64 v[76:77], v[8:9], -v[12:13]
	v_add_f64 v[60:61], v[12:13], -v[8:9]
	;; [unrolled: 1-line block ×4, first 2 shown]
	v_add_f64 v[28:29], v[16:17], v[12:13]
	v_add_f64 v[16:17], v[6:7], v[10:11]
	;; [unrolled: 1-line block ×3, first 2 shown]
	ds_read_b128 v[16:19], v40 offset:35840
	s_waitcnt lgkmcnt(0)
	v_add_f64 v[98:99], v[12:13], v[16:17]
	v_add_f64 v[32:33], v[14:15], -v[18:19]
	v_add_f64 v[102:103], v[14:15], v[18:19]
	v_add_f64 v[34:35], v[12:13], -v[16:17]
	ds_read_b128 v[12:15], v40 offset:46080
	v_fma_f64 v[98:99], v[98:99], -0.5, v[4:5]
	s_waitcnt lgkmcnt(0)
	v_add_f64 v[42:43], v[10:11], -v[14:15]
	v_add_f64 v[104:105], v[8:9], v[12:13]
	v_add_f64 v[120:121], v[8:9], -v[12:13]
	v_add_f64 v[106:107], v[10:11], v[14:15]
	v_add_f64 v[8:9], v[28:29], v[16:17]
	;; [unrolled: 1-line block ×3, first 2 shown]
	v_add_f64 v[80:81], v[12:13], -v[16:17]
	v_add_f64 v[68:69], v[16:17], -v[12:13]
	;; [unrolled: 1-line block ×4, first 2 shown]
	v_fma_f64 v[102:103], v[102:103], -0.5, v[6:7]
	v_fma_f64 v[104:105], v[104:105], -0.5, v[4:5]
	;; [unrolled: 1-line block ×3, first 2 shown]
	v_add_f64 v[108:109], v[8:9], v[12:13]
	v_add_f64 v[110:111], v[10:11], v[14:15]
	ds_read_b128 v[8:11], v40 offset:2560
	ds_read_b128 v[36:39], v40 offset:12800
	;; [unrolled: 1-line block ×5, first 2 shown]
	v_add_f64 v[76:77], v[76:77], v[80:81]
	v_add_f64 v[78:79], v[78:79], v[82:83]
	v_fma_f64 v[58:59], v[32:33], s[16:17], v[104:105]
	v_fma_f64 v[56:57], v[34:35], s[14:15], v[106:107]
	s_waitcnt lgkmcnt(3)
	v_add_f64 v[12:13], v[8:9], v[36:37]
	s_waitcnt lgkmcnt(2)
	v_add_f64 v[44:45], v[36:37], -v[14:15]
	s_waitcnt lgkmcnt(1)
	v_add_f64 v[112:113], v[14:15], v[122:123]
	v_add_f64 v[28:29], v[14:15], -v[36:37]
	v_add_f64 v[114:115], v[16:17], v[124:125]
	v_add_f64 v[46:47], v[38:39], -v[16:17]
	v_add_f64 v[30:31], v[16:17], -v[38:39]
	s_waitcnt lgkmcnt(0)
	v_add_f64 v[116:117], v[36:37], v[126:127]
	v_add_f64 v[18:19], v[36:37], -v[126:127]
	v_add_f64 v[118:119], v[38:39], v[128:129]
	v_add_f64 v[36:37], v[122:123], -v[126:127]
	v_add_f64 v[4:5], v[88:89], -v[108:109]
	;; [unrolled: 1-line block ×3, first 2 shown]
	v_fma_f64 v[58:59], v[42:43], s[6:7], v[58:59]
	v_fma_f64 v[56:57], v[120:121], s[12:13], v[56:57]
	v_add_f64 v[50:51], v[12:13], v[14:15]
	v_add_f64 v[12:13], v[10:11], v[38:39]
	v_add_f64 v[14:15], v[14:15], -v[122:123]
	v_add_f64 v[96:97], v[50:51], v[122:123]
	v_add_f64 v[54:55], v[12:13], v[16:17]
	v_add_f64 v[12:13], v[16:17], -v[124:125]
	v_add_f64 v[16:17], v[38:39], -v[128:129]
	;; [unrolled: 1-line block ×4, first 2 shown]
	v_add_f64 v[100:101], v[96:97], v[126:127]
	v_add_f64 v[132:133], v[54:55], v[124:125]
	v_add_f64 v[54:55], v[128:129], -v[124:125]
	v_add_f64 v[96:97], v[132:133], v[128:129]
	ds_read_b128 v[122:125], v40 offset:7680
	ds_read_b128 v[126:129], v40 offset:17920
	;; [unrolled: 1-line block ×3, first 2 shown]
	s_waitcnt lgkmcnt(1)
	v_add_f64 v[137:138], v[122:123], v[126:127]
	s_waitcnt lgkmcnt(0)
	v_add_f64 v[149:150], v[126:127], -v[132:133]
	v_add_f64 v[151:152], v[132:133], -v[126:127]
	;; [unrolled: 1-line block ×4, first 2 shown]
	v_add_f64 v[141:142], v[137:138], v[132:133]
	v_add_f64 v[137:138], v[124:125], v[128:129]
	v_add_f64 v[143:144], v[137:138], v[134:135]
	ds_read_b128 v[137:140], v40 offset:38400
	s_waitcnt lgkmcnt(0)
	v_add_f64 v[145:146], v[132:133], v[137:138]
	v_add_f64 v[147:148], v[134:135], -v[139:140]
	v_add_f64 v[153:154], v[134:135], v[139:140]
	v_add_f64 v[155:156], v[132:133], -v[137:138]
	ds_read_b128 v[132:135], v40 offset:48640
	v_add_f64 v[141:142], v[141:142], v[137:138]
	v_add_f64 v[143:144], v[143:144], v[139:140]
	s_waitcnt lgkmcnt(0)
	s_barrier
	buffer_gl0_inv
	v_add_f64 v[161:162], v[128:129], -v[134:135]
	v_add_f64 v[128:129], v[128:129], v[134:135]
	v_add_f64 v[163:164], v[126:127], v[132:133]
	v_add_f64 v[126:127], v[126:127], -v[132:133]
	v_add_f64 v[165:166], v[132:133], -v[137:138]
	;; [unrolled: 1-line block ×5, first 2 shown]
	v_add_f64 v[132:133], v[141:142], v[132:133]
	v_add_f64 v[134:135], v[143:144], v[134:135]
	v_fma_f64 v[140:141], v[84:85], -0.5, v[0:1]
	v_fma_f64 v[142:143], v[86:87], -0.5, v[2:3]
	v_add_f64 v[0:1], v[88:89], v[108:109]
	v_add_f64 v[2:3], v[92:93], v[110:111]
	v_mov_b32_e32 v137, 4
	v_fma_f64 v[110:111], v[118:119], -0.5, v[10:11]
	v_fma_f64 v[88:89], v[112:113], -0.5, v[8:9]
	;; [unrolled: 1-line block ×7, first 2 shown]
	v_lshlrev_b32_sdwa v129, v137, v41 dst_sel:DWORD dst_unused:UNUSED_PAD src0_sel:DWORD src1_sel:WORD_0
	ds_write_b128 v129, v[0:3]
	ds_write_b128 v129, v[4:7] offset:80
	v_fma_f64 v[0:1], v[42:43], s[14:15], v[98:99]
	v_fma_f64 v[2:3], v[120:121], s[16:17], v[102:103]
	v_fma_f64 v[114:115], v[163:164], -0.5, v[122:123]
	v_add_f64 v[8:9], v[100:101], v[132:133]
	v_add_f64 v[10:11], v[96:97], v[134:135]
	v_add_f64 v[84:85], v[100:101], -v[132:133]
	v_add_f64 v[86:87], v[96:97], -v[134:135]
	v_fma_f64 v[0:1], v[32:33], s[6:7], v[0:1]
	v_fma_f64 v[2:3], v[34:35], s[12:13], v[2:3]
	v_fma_f64 v[0:1], v[76:77], s[8:9], v[0:1]
	v_fma_f64 v[2:3], v[78:79], s[8:9], v[2:3]
	v_mul_f64 v[4:5], v[0:1], s[22:23]
	v_mul_f64 v[0:1], v[0:1], s[12:13]
	v_fma_f64 v[4:5], v[2:3], s[6:7], v[4:5]
	v_fma_f64 v[6:7], v[2:3], s[22:23], v[0:1]
	;; [unrolled: 1-line block ×8, first 2 shown]
	v_add_f64 v[2:3], v[66:67], v[6:7]
	v_add_f64 v[6:7], v[66:67], -v[6:7]
	v_add_f64 v[66:67], v[62:63], v[70:71]
	v_add_f64 v[0:1], v[64:65], v[4:5]
	v_add_f64 v[4:5], v[64:65], -v[4:5]
	v_add_f64 v[64:65], v[60:61], v[68:69]
	v_fma_f64 v[56:57], v[66:67], s[8:9], v[56:57]
	v_fma_f64 v[58:59], v[64:65], s[8:9], v[58:59]
	v_mul_f64 v[60:61], v[56:57], s[14:15]
	v_fma_f64 v[60:61], v[58:59], s[8:9], v[60:61]
	v_mul_f64 v[58:59], v[58:59], s[16:17]
	v_fma_f64 v[62:63], v[56:57], s[8:9], v[58:59]
	v_fma_f64 v[56:57], v[20:21], s[16:17], v[90:91]
	;; [unrolled: 1-line block ×7, first 2 shown]
	v_add_f64 v[56:57], v[68:69], v[60:61]
	v_add_f64 v[60:61], v[68:69], -v[60:61]
	v_fma_f64 v[68:69], v[20:21], s[14:15], v[90:91]
	v_add_f64 v[58:59], v[70:71], v[62:63]
	v_add_f64 v[62:63], v[70:71], -v[62:63]
	v_fma_f64 v[68:69], v[24:25], s[12:13], v[68:69]
	v_fma_f64 v[24:25], v[24:25], s[16:17], v[140:141]
	;; [unrolled: 1-line block ×18, first 2 shown]
	v_add_f64 v[76:77], v[157:158], v[169:170]
	v_add_f64 v[72:73], v[44:45], v[50:51]
	v_fma_f64 v[66:67], v[66:67], s[8:9], v[68:69]
	v_mul_f64 v[68:69], v[64:65], s[18:19]
	v_fma_f64 v[68:69], v[66:67], s[14:15], v[68:69]
	v_mul_f64 v[66:67], v[66:67], s[18:19]
	v_fma_f64 v[70:71], v[64:65], s[16:17], v[66:67]
	v_add_f64 v[64:65], v[48:49], v[68:69]
	v_add_f64 v[68:69], v[48:49], -v[68:69]
	v_fma_f64 v[48:49], v[120:121], s[14:15], v[102:103]
	v_add_f64 v[66:67], v[52:53], v[70:71]
	v_add_f64 v[70:71], v[52:53], -v[70:71]
	v_add_f64 v[53:54], v[46:47], v[54:55]
	v_fma_f64 v[24:25], v[34:35], s[6:7], v[48:49]
	v_fma_f64 v[34:35], v[74:75], s[8:9], v[22:23]
	v_mul_f64 v[22:23], v[26:27], s[20:21]
	v_add_f64 v[74:75], v[149:150], v[165:166]
	v_add_f64 v[51:52], v[159:160], v[138:139]
	;; [unrolled: 1-line block ×3, first 2 shown]
	v_add_co_u32 v138, null, 0xa0, v190
	v_fma_f64 v[20:21], v[78:79], s[8:9], v[24:25]
	v_fma_f64 v[24:25], v[20:21], s[6:7], v[22:23]
	v_mul_f64 v[20:21], v[20:21], s[20:21]
	v_fma_f64 v[26:27], v[26:27], s[12:13], v[20:21]
	v_add_f64 v[20:21], v[32:33], v[24:25]
	v_add_f64 v[24:25], v[32:33], -v[24:25]
	v_fma_f64 v[32:33], v[161:162], s[14:15], v[112:113]
	v_add_f64 v[22:23], v[34:35], v[26:27]
	v_add_f64 v[26:27], v[34:35], -v[26:27]
	v_fma_f64 v[34:35], v[126:127], s[16:17], v[116:117]
	v_fma_f64 v[32:33], v[147:148], s[6:7], v[32:33]
	ds_write_b128 v129, v[0:3] offset:16
	ds_write_b128 v129, v[56:59] offset:32
	;; [unrolled: 1-line block ×8, first 2 shown]
	v_mul_u32_u24_e32 v0, 10, v138
	v_fma_f64 v[34:35], v[155:156], s[12:13], v[34:35]
	v_fma_f64 v[32:33], v[74:75], s[8:9], v[32:33]
	v_lshlrev_b32_e32 v96, 4, v0
	v_and_b32_e32 v0, 0xff, v136
	v_mul_lo_u16 v0, 0xcd, v0
	v_fma_f64 v[34:35], v[76:77], s[8:9], v[34:35]
	v_mul_f64 v[41:42], v[32:33], s[22:23]
	v_mul_f64 v[32:33], v[32:33], s[12:13]
	v_fma_f64 v[41:42], v[34:35], s[6:7], v[41:42]
	v_fma_f64 v[43:44], v[34:35], s[22:23], v[32:33]
	;; [unrolled: 1-line block ×8, first 2 shown]
	v_add_f64 v[32:33], v[45:46], v[41:42]
	v_add_f64 v[41:42], v[45:46], -v[41:42]
	v_add_f64 v[45:46], v[28:29], v[36:37]
	v_fma_f64 v[28:29], v[155:156], s[14:15], v[118:119]
	v_add_f64 v[34:35], v[47:48], v[43:44]
	v_add_f64 v[43:44], v[47:48], -v[43:44]
	v_add_f64 v[47:48], v[30:31], v[38:39]
	v_fma_f64 v[30:31], v[147:148], s[16:17], v[114:115]
	v_fma_f64 v[28:29], v[126:127], s[12:13], v[28:29]
	;; [unrolled: 1-line block ×5, first 2 shown]
	v_mul_f64 v[36:37], v[28:29], s[14:15]
	v_fma_f64 v[36:37], v[30:31], s[8:9], v[36:37]
	v_mul_f64 v[30:31], v[30:31], s[16:17]
	v_fma_f64 v[38:39], v[28:29], s[8:9], v[30:31]
	v_fma_f64 v[28:29], v[12:13], s[16:17], v[92:93]
	;; [unrolled: 1-line block ×7, first 2 shown]
	v_add_f64 v[28:29], v[78:79], v[36:37]
	v_add_f64 v[36:37], v[78:79], -v[36:37]
	v_fma_f64 v[78:79], v[12:13], s[14:15], v[92:93]
	v_add_f64 v[30:31], v[80:81], v[38:39]
	v_add_f64 v[38:39], v[80:81], -v[38:39]
	v_fma_f64 v[78:79], v[16:17], s[12:13], v[78:79]
	v_fma_f64 v[16:17], v[16:17], s[16:17], v[88:89]
	;; [unrolled: 1-line block ×17, first 2 shown]
	v_mul_f64 v[49:50], v[45:46], s[18:19]
	v_fma_f64 v[49:50], v[47:48], s[14:15], v[49:50]
	v_mul_f64 v[47:48], v[47:48], s[18:19]
	v_fma_f64 v[51:52], v[45:46], s[16:17], v[47:48]
	v_add_f64 v[45:46], v[78:79], v[49:50]
	v_add_f64 v[49:50], v[78:79], -v[49:50]
	v_fma_f64 v[78:79], v[161:162], s[16:17], v[112:113]
	v_add_f64 v[47:48], v[80:81], v[51:52]
	v_add_f64 v[51:52], v[80:81], -v[51:52]
	v_fma_f64 v[80:81], v[126:127], s[14:15], v[116:117]
	v_fma_f64 v[78:79], v[147:148], s[12:13], v[78:79]
	;; [unrolled: 1-line block ×5, first 2 shown]
	v_mul_f64 v[14:15], v[18:19], s[20:21]
	v_fma_f64 v[16:17], v[12:13], s[6:7], v[14:15]
	v_mul_f64 v[12:13], v[12:13], s[20:21]
	v_fma_f64 v[18:19], v[18:19], s[12:13], v[12:13]
	v_add_f64 v[12:13], v[72:73], v[16:17]
	v_add_f64 v[16:17], v[72:73], -v[16:17]
	v_add_f64 v[14:15], v[53:54], v[18:19]
	v_add_f64 v[18:19], v[53:54], -v[18:19]
	ds_write_b128 v96, v[8:11]
	ds_write_b128 v96, v[32:35] offset:16
	ds_write_b128 v96, v[28:31] offset:32
	;; [unrolled: 1-line block ×9, first 2 shown]
	v_lshrrev_b16 v41, 11, v0
	s_waitcnt lgkmcnt(0)
	s_barrier
	buffer_gl0_inv
	v_mul_lo_u16 v0, v41, 10
	v_sub_nc_u16 v0, v136, v0
	v_and_b32_e32 v139, 0xff, v0
	v_mad_u64_u32 v[4:5], null, 0x90, v139, s[10:11]
	global_load_dwordx4 v[8:11], v[4:5], off
	s_waitcnt vmcnt(0)
	buffer_store_dword v8, off, s[28:31], 0 offset:376 ; 4-byte Folded Spill
	buffer_store_dword v9, off, s[28:31], 0 offset:380 ; 4-byte Folded Spill
	buffer_store_dword v10, off, s[28:31], 0 offset:384 ; 4-byte Folded Spill
	buffer_store_dword v11, off, s[28:31], 0 offset:388 ; 4-byte Folded Spill
	ds_read_b128 v[0:3], v40 offset:5120
	s_waitcnt lgkmcnt(0)
	v_mul_f64 v[6:7], v[2:3], v[10:11]
	v_fma_f64 v[36:37], v[0:1], v[8:9], -v[6:7]
	v_mul_f64 v[0:1], v[0:1], v[10:11]
	v_fma_f64 v[46:47], v[2:3], v[8:9], v[0:1]
	global_load_dwordx4 v[8:11], v[4:5], off offset:16
	s_waitcnt vmcnt(0)
	buffer_store_dword v8, off, s[28:31], 0 offset:392 ; 4-byte Folded Spill
	buffer_store_dword v9, off, s[28:31], 0 offset:396 ; 4-byte Folded Spill
	buffer_store_dword v10, off, s[28:31], 0 offset:400 ; 4-byte Folded Spill
	buffer_store_dword v11, off, s[28:31], 0 offset:404 ; 4-byte Folded Spill
	ds_read_b128 v[0:3], v40 offset:10240
	s_waitcnt lgkmcnt(0)
	v_mul_f64 v[6:7], v[2:3], v[10:11]
	v_fma_f64 v[48:49], v[0:1], v[8:9], -v[6:7]
	v_mul_f64 v[0:1], v[0:1], v[10:11]
	v_fma_f64 v[50:51], v[2:3], v[8:9], v[0:1]
	global_load_dwordx4 v[8:11], v[4:5], off offset:32
	;; [unrolled: 12-line block ×5, first 2 shown]
	s_waitcnt vmcnt(0)
	buffer_store_dword v8, off, s[28:31], 0 offset:456 ; 4-byte Folded Spill
	buffer_store_dword v9, off, s[28:31], 0 offset:460 ; 4-byte Folded Spill
	buffer_store_dword v10, off, s[28:31], 0 offset:464 ; 4-byte Folded Spill
	buffer_store_dword v11, off, s[28:31], 0 offset:468 ; 4-byte Folded Spill
	ds_read_b128 v[0:3], v40 offset:30720
	s_waitcnt lgkmcnt(0)
	v_mul_f64 v[6:7], v[2:3], v[10:11]
	v_fma_f64 v[64:65], v[0:1], v[8:9], -v[6:7]
	v_mul_f64 v[0:1], v[0:1], v[10:11]
	v_add_f64 v[178:179], v[56:57], -v[64:65]
	v_fma_f64 v[66:67], v[2:3], v[8:9], v[0:1]
	global_load_dwordx4 v[8:11], v[4:5], off offset:96
	s_waitcnt vmcnt(0)
	buffer_store_dword v8, off, s[28:31], 0 offset:472 ; 4-byte Folded Spill
	buffer_store_dword v9, off, s[28:31], 0 offset:476 ; 4-byte Folded Spill
	;; [unrolled: 1-line block ×4, first 2 shown]
	ds_read_b128 v[0:3], v40 offset:35840
	v_add_f64 v[174:175], v[58:59], -v[66:67]
	s_waitcnt lgkmcnt(0)
	v_mul_f64 v[6:7], v[2:3], v[10:11]
	v_fma_f64 v[70:71], v[0:1], v[8:9], -v[6:7]
	v_mul_f64 v[0:1], v[0:1], v[10:11]
	v_add_f64 v[166:167], v[62:63], -v[70:71]
	v_fma_f64 v[68:69], v[2:3], v[8:9], v[0:1]
	global_load_dwordx4 v[8:11], v[4:5], off offset:112
	s_waitcnt vmcnt(0)
	buffer_store_dword v8, off, s[28:31], 0 offset:488 ; 4-byte Folded Spill
	buffer_store_dword v9, off, s[28:31], 0 offset:492 ; 4-byte Folded Spill
	;; [unrolled: 1-line block ×4, first 2 shown]
	ds_read_b128 v[0:3], v40 offset:40960
	v_add_f64 v[170:171], v[60:61], -v[68:69]
	s_waitcnt lgkmcnt(0)
	v_mul_f64 v[6:7], v[2:3], v[10:11]
	v_fma_f64 v[72:73], v[0:1], v[8:9], -v[6:7]
	v_mul_f64 v[0:1], v[0:1], v[10:11]
	v_add_f64 v[176:177], v[48:49], -v[72:73]
	v_fma_f64 v[74:75], v[2:3], v[8:9], v[0:1]
	global_load_dwordx4 v[6:9], v[4:5], off offset:128
	s_waitcnt vmcnt(0)
	buffer_store_dword v6, off, s[28:31], 0 offset:504 ; 4-byte Folded Spill
	buffer_store_dword v7, off, s[28:31], 0 offset:508 ; 4-byte Folded Spill
	;; [unrolled: 1-line block ×4, first 2 shown]
	ds_read_b128 v[0:3], v40 offset:46080
	ds_read_b128 v[142:145], v40 offset:2560
	v_add_f64 v[172:173], v[50:51], -v[74:75]
	s_waitcnt lgkmcnt(1)
	v_mul_f64 v[4:5], v[2:3], v[8:9]
	v_fma_f64 v[78:79], v[0:1], v[6:7], -v[4:5]
	v_mul_f64 v[0:1], v[0:1], v[8:9]
	v_add_f64 v[164:165], v[54:55], -v[78:79]
	v_fma_f64 v[76:77], v[2:3], v[6:7], v[0:1]
	v_mov_b32_e32 v0, 0xcccd
	v_mul_u32_u24_sdwa v0, v138, v0 dst_sel:DWORD dst_unused:UNUSED_PAD src0_sel:WORD_0 src1_sel:DWORD
	v_lshrrev_b32_e32 v140, 19, v0
	v_mul_lo_u16 v0, v140, 10
	v_sub_nc_u16 v141, v138, v0
	v_add_f64 v[168:169], v[52:53], -v[76:77]
	v_mul_lo_u16 v0, 0x90, v141
	v_and_b32_e32 v0, 0xffff, v0
	v_add_co_u32 v4, s26, s10, v0
	v_add_co_ci_u32_e64 v5, null, s11, 0, s26
	ds_read_b128 v[0:3], v40 offset:7680
	s_clause 0x8
	global_load_dwordx4 v[132:135], v[4:5], off
	global_load_dwordx4 v[125:128], v[4:5], off offset:16
	global_load_dwordx4 v[121:124], v[4:5], off offset:32
	;; [unrolled: 1-line block ×8, first 2 shown]
	s_waitcnt vmcnt(8) lgkmcnt(0)
	v_mul_f64 v[6:7], v[2:3], v[134:135]
	v_fma_f64 v[8:9], v[0:1], v[132:133], -v[6:7]
	v_mul_f64 v[0:1], v[0:1], v[134:135]
	v_fma_f64 v[10:11], v[2:3], v[132:133], v[0:1]
	ds_read_b128 v[0:3], v40 offset:12800
	s_waitcnt vmcnt(7) lgkmcnt(0)
	v_mul_f64 v[6:7], v[2:3], v[127:128]
	v_fma_f64 v[12:13], v[0:1], v[125:126], -v[6:7]
	v_mul_f64 v[0:1], v[0:1], v[127:128]
	v_fma_f64 v[14:15], v[2:3], v[125:126], v[0:1]
	ds_read_b128 v[0:3], v40 offset:17920
	;; [unrolled: 6-line block ×3, first 2 shown]
	s_waitcnt vmcnt(5) lgkmcnt(0)
	v_mul_f64 v[6:7], v[2:3], v[119:120]
	v_add_f64 v[148:149], v[10:11], v[16:17]
	v_fma_f64 v[20:21], v[0:1], v[117:118], -v[6:7]
	v_mul_f64 v[0:1], v[0:1], v[119:120]
	v_fma_f64 v[22:23], v[2:3], v[117:118], v[0:1]
	ds_read_b128 v[0:3], v40 offset:28160
	s_waitcnt vmcnt(4) lgkmcnt(0)
	v_mul_f64 v[6:7], v[2:3], v[115:116]
	v_fma_f64 v[26:27], v[0:1], v[113:114], -v[6:7]
	v_mul_f64 v[0:1], v[0:1], v[115:116]
	v_fma_f64 v[24:25], v[2:3], v[113:114], v[0:1]
	ds_read_b128 v[0:3], v40 offset:33280
	s_waitcnt vmcnt(3) lgkmcnt(0)
	v_mul_f64 v[6:7], v[2:3], v[111:112]
	v_add_f64 v[148:149], v[148:149], v[24:25]
	v_fma_f64 v[28:29], v[0:1], v[109:110], -v[6:7]
	v_mul_f64 v[0:1], v[0:1], v[111:112]
	v_fma_f64 v[30:31], v[2:3], v[109:110], v[0:1]
	ds_read_b128 v[0:3], v40 offset:38400
	s_waitcnt vmcnt(2) lgkmcnt(0)
	v_mul_f64 v[6:7], v[2:3], v[107:108]
	v_add_f64 v[92:93], v[22:23], v[30:31]
	v_fma_f64 v[34:35], v[0:1], v[105:106], -v[6:7]
	v_mul_f64 v[0:1], v[0:1], v[107:108]
	v_fma_f64 v[92:93], v[92:93], -0.5, v[144:145]
	v_fma_f64 v[32:33], v[2:3], v[105:106], v[0:1]
	ds_read_b128 v[0:3], v40 offset:43520
	s_waitcnt vmcnt(1) lgkmcnt(0)
	v_mul_f64 v[6:7], v[2:3], v[103:104]
	v_add_f64 v[148:149], v[148:149], v[32:33]
	v_fma_f64 v[38:39], v[0:1], v[101:102], -v[6:7]
	v_mul_f64 v[0:1], v[0:1], v[103:104]
	v_add_f64 v[6:7], v[46:47], v[52:53]
	v_fma_f64 v[94:95], v[2:3], v[101:102], v[0:1]
	ds_read_b128 v[0:3], v40 offset:48640
	v_add_f64 v[6:7], v[6:7], v[60:61]
	s_waitcnt vmcnt(0) lgkmcnt(0)
	v_mul_f64 v[4:5], v[2:3], v[99:100]
	v_add_f64 v[146:147], v[14:15], v[94:95]
	v_add_f64 v[6:7], v[6:7], v[68:69]
	v_fma_f64 v[44:45], v[0:1], v[97:98], -v[4:5]
	v_mul_f64 v[0:1], v[0:1], v[99:100]
	v_add_f64 v[4:5], v[56:57], v[64:65]
	v_add_f64 v[90:91], v[6:7], v[76:77]
	v_fma_f64 v[150:151], v[146:147], -0.5, v[144:145]
	v_add_f64 v[146:147], v[8:9], v[18:19]
	v_add_f64 v[144:145], v[144:145], v[14:15]
	v_fma_f64 v[42:43], v[2:3], v[97:98], v[0:1]
	ds_read_b128 v[0:3], v40
	s_waitcnt lgkmcnt(0)
	s_waitcnt_vscnt null, 0x0
	s_barrier
	v_add_f64 v[146:147], v[146:147], v[26:27]
	v_add_f64 v[144:145], v[144:145], v[22:23]
	buffer_gl0_inv
	v_fma_f64 v[80:81], v[4:5], -0.5, v[0:1]
	v_add_f64 v[4:5], v[48:49], v[72:73]
	v_add_f64 v[148:149], v[148:149], v[42:43]
	;; [unrolled: 1-line block ×4, first 2 shown]
	v_fma_f64 v[84:85], v[4:5], -0.5, v[0:1]
	v_add_f64 v[4:5], v[58:59], v[66:67]
	v_add_f64 v[0:1], v[0:1], v[48:49]
	;; [unrolled: 1-line block ×4, first 2 shown]
	v_fma_f64 v[82:83], v[4:5], -0.5, v[2:3]
	v_add_f64 v[4:5], v[50:51], v[74:75]
	v_add_f64 v[0:1], v[0:1], v[56:57]
	;; [unrolled: 1-line block ×3, first 2 shown]
	v_add_f64 v[148:149], v[154:155], -v[148:149]
	v_fma_f64 v[86:87], v[4:5], -0.5, v[2:3]
	v_add_f64 v[2:3], v[2:3], v[50:51]
	v_add_f64 v[4:5], v[36:37], v[54:55]
	v_add_f64 v[0:1], v[0:1], v[64:65]
	v_add_f64 v[2:3], v[2:3], v[58:59]
	v_add_f64 v[4:5], v[4:5], v[62:63]
	v_add_f64 v[0:1], v[0:1], v[72:73]
	v_add_f64 v[2:3], v[2:3], v[66:67]
	v_add_f64 v[4:5], v[4:5], v[70:71]
	v_add_f64 v[2:3], v[2:3], v[74:75]
	v_add_f64 v[88:89], v[4:5], v[78:79]
	v_add_f64 v[6:7], v[2:3], v[90:91]
	v_add_f64 v[4:5], v[0:1], v[88:89]
	v_add_f64 v[0:1], v[0:1], -v[88:89]
	v_add_f64 v[2:3], v[2:3], -v[90:91]
	v_add_f64 v[88:89], v[20:21], v[28:29]
	v_add_f64 v[90:91], v[12:13], v[38:39]
	v_fma_f64 v[88:89], v[88:89], -0.5, v[142:143]
	v_fma_f64 v[90:91], v[90:91], -0.5, v[142:143]
	v_add_f64 v[142:143], v[142:143], v[12:13]
	v_add_f64 v[142:143], v[142:143], v[20:21]
	;; [unrolled: 1-line block ×5, first 2 shown]
	v_add_f64 v[146:147], v[152:153], -v[146:147]
	v_mov_b32_e32 v152, 0x64
	v_mul_u32_u24_sdwa v41, v41, v152 dst_sel:DWORD dst_unused:UNUSED_PAD src0_sel:WORD_0 src1_sel:DWORD
	v_add_lshl_u32 v185, v41, v139, 4
	ds_write_b128 v185, v[4:7]
	ds_write_b128 v185, v[0:3] offset:800
	v_add_f64 v[0:1], v[48:49], -v[56:57]
	v_add_f64 v[2:3], v[72:73], -v[64:65]
	;; [unrolled: 1-line block ×6, first 2 shown]
	v_mov_b32_e32 v139, v190
	v_add_nc_u16 v41, v136, 0x280
	v_add_f64 v[152:153], v[0:1], v[2:3]
	v_add_f64 v[0:1], v[50:51], -v[58:59]
	v_add_f64 v[2:3], v[74:75], -v[66:67]
	;; [unrolled: 1-line block ×5, first 2 shown]
	v_add_f64 v[56:57], v[48:49], v[56:57]
	v_add_f64 v[154:155], v[0:1], v[2:3]
	v_add_f64 v[0:1], v[54:55], -v[62:63]
	v_add_f64 v[2:3], v[78:79], -v[70:71]
	v_add_f64 v[58:59], v[50:51], v[58:59]
	v_add_f64 v[156:157], v[0:1], v[2:3]
	v_add_f64 v[0:1], v[52:53], -v[60:61]
	v_add_f64 v[2:3], v[76:77], -v[68:69]
	v_add_f64 v[158:159], v[0:1], v[2:3]
	v_add_f64 v[0:1], v[62:63], v[70:71]
	v_add_f64 v[62:63], v[62:63], -v[54:55]
	v_add_f64 v[54:55], v[54:55], v[78:79]
	v_fma_f64 v[160:161], v[0:1], -0.5, v[36:37]
	v_add_f64 v[0:1], v[60:61], v[68:69]
	v_add_f64 v[60:61], v[60:61], -v[52:53]
	v_add_f64 v[52:53], v[52:53], v[76:77]
	v_fma_f64 v[36:37], v[54:55], -0.5, v[36:37]
	v_add_f64 v[54:55], v[62:63], v[64:65]
	v_fma_f64 v[2:3], v[168:169], s[14:15], v[160:161]
	v_fma_f64 v[162:163], v[0:1], -0.5, v[46:47]
	v_add_f64 v[60:61], v[60:61], v[66:67]
	v_fma_f64 v[68:69], v[52:53], -0.5, v[46:47]
	v_fma_f64 v[48:49], v[170:171], s[16:17], v[36:37]
	v_fma_f64 v[36:37], v[170:171], s[14:15], v[36:37]
	;; [unrolled: 1-line block ×8, first 2 shown]
	v_add_f64 v[162:163], v[22:23], -v[30:31]
	v_fma_f64 v[2:3], v[156:157], s[8:9], v[2:3]
	v_fma_f64 v[66:67], v[166:167], s[6:7], v[66:67]
	;; [unrolled: 1-line block ×7, first 2 shown]
	v_add_f64 v[166:167], v[20:21], -v[28:29]
	v_fma_f64 v[0:1], v[158:159], s[8:9], v[0:1]
	v_fma_f64 v[46:47], v[60:61], s[8:9], v[46:47]
	;; [unrolled: 1-line block ×3, first 2 shown]
	v_add_f64 v[164:165], v[12:13], -v[38:39]
	v_mul_f64 v[4:5], v[0:1], s[6:7]
	v_mul_f64 v[50:51], v[46:47], s[14:15]
	v_fma_f64 v[54:55], v[60:61], s[8:9], v[54:55]
	v_fma_f64 v[4:5], v[2:3], s[22:23], v[4:5]
	;; [unrolled: 1-line block ×3, first 2 shown]
	v_mul_f64 v[48:49], v[48:49], s[16:17]
	v_mul_f64 v[2:3], v[2:3], s[12:13]
	v_fma_f64 v[52:53], v[46:47], s[8:9], v[48:49]
	v_fma_f64 v[46:47], v[174:175], s[16:17], v[84:85]
	;; [unrolled: 1-line block ×14, first 2 shown]
	v_add_f64 v[46:47], v[62:63], v[50:51]
	v_add_f64 v[50:51], v[62:63], -v[50:51]
	v_fma_f64 v[62:63], v[174:175], s[14:15], v[84:85]
	v_add_f64 v[48:49], v[64:65], v[52:53]
	v_add_f64 v[52:53], v[64:65], -v[52:53]
	v_add_f64 v[0:1], v[180:181], v[4:5]
	v_add_f64 v[2:3], v[182:183], v[6:7]
	v_add_f64 v[4:5], v[180:181], -v[4:5]
	v_add_f64 v[6:7], v[182:183], -v[6:7]
	v_fma_f64 v[62:63], v[172:173], s[12:13], v[62:63]
	v_fma_f64 v[62:63], v[56:57], s[8:9], v[62:63]
	;; [unrolled: 1-line block ×5, first 2 shown]
	v_mul_f64 v[56:57], v[36:37], s[18:19]
	v_fma_f64 v[58:59], v[54:55], s[14:15], v[56:57]
	v_mul_f64 v[54:55], v[54:55], s[18:19]
	v_fma_f64 v[36:37], v[36:37], s[16:17], v[54:55]
	v_add_f64 v[54:55], v[62:63], v[58:59]
	v_add_f64 v[58:59], v[62:63], -v[58:59]
	v_fma_f64 v[62:63], v[172:173], s[16:17], v[80:81]
	v_add_f64 v[56:57], v[64:65], v[36:37]
	v_add_f64 v[60:61], v[64:65], -v[36:37]
	v_fma_f64 v[36:37], v[168:169], s[16:17], v[160:161]
	v_fma_f64 v[64:65], v[176:177], s[14:15], v[82:83]
	;; [unrolled: 1-line block ×3, first 2 shown]
	v_add_f64 v[160:161], v[14:15], -v[94:95]
	v_fma_f64 v[36:37], v[170:171], s[12:13], v[36:37]
	v_fma_f64 v[64:65], v[178:179], s[6:7], v[64:65]
	;; [unrolled: 1-line block ×4, first 2 shown]
	v_add_f64 v[158:159], v[24:25], -v[32:33]
	v_add_f64 v[152:153], v[18:19], -v[44:45]
	v_fma_f64 v[36:37], v[156:157], s[8:9], v[36:37]
	v_fma_f64 v[70:71], v[154:155], s[8:9], v[64:65]
	v_add_f64 v[156:157], v[16:17], -v[42:43]
	v_add_f64 v[154:155], v[26:27], -v[34:35]
	v_mul_f64 v[64:65], v[36:37], s[20:21]
	v_fma_f64 v[66:67], v[62:63], s[6:7], v[64:65]
	v_mul_f64 v[62:63], v[62:63], s[20:21]
	v_fma_f64 v[36:37], v[36:37], s[12:13], v[62:63]
	v_add_f64 v[62:63], v[68:69], v[66:67]
	v_add_f64 v[66:67], v[68:69], -v[66:67]
	v_add_f64 v[64:65], v[70:71], v[36:37]
	v_add_f64 v[68:69], v[70:71], -v[36:37]
	v_add_f64 v[36:37], v[12:13], -v[20:21]
	;; [unrolled: 1-line block ×6, first 2 shown]
	ds_write_b128 v185, v[0:3] offset:160
	ds_write_b128 v185, v[46:49] offset:320
	;; [unrolled: 1-line block ×8, first 2 shown]
	v_mad_u16 v0, 0x64, v140, v141
	v_mov_b32_e32 v48, 0x147b
	v_add_co_u32 v57, null, 0x140, v139
	v_lshrrev_b16 v49, 2, v41
	v_add_f64 v[36:37], v[36:37], v[70:71]
	v_add_f64 v[70:71], v[14:15], -v[22:23]
	v_add_f64 v[14:15], v[22:23], -v[14:15]
	;; [unrolled: 1-line block ×4, first 2 shown]
	v_add_f64 v[20:21], v[12:13], v[20:21]
	v_lshlrev_b32_sdwa v184, v137, v0 dst_sel:DWORD dst_unused:UNUSED_PAD src0_sel:DWORD src1_sel:WORD_0
	v_add_nc_u32_e32 v0, 0xffffff9c, v190
	v_cndmask_b32_e32 v56, v0, v190, vcc_lo
	v_mul_i32_i24_e32 v0, 48, v56
	v_mul_hi_i32_i24_e32 v1, 48, v56
	v_add_f64 v[78:79], v[70:71], v[72:73]
	v_add_f64 v[70:71], v[18:19], -v[26:27]
	v_add_f64 v[72:73], v[44:45], -v[34:35]
	v_add_f64 v[22:23], v[14:15], v[22:23]
	v_add_f64 v[80:81], v[70:71], v[72:73]
	v_add_f64 v[70:71], v[16:17], -v[24:25]
	v_add_f64 v[72:73], v[42:43], -v[32:33]
	v_add_f64 v[82:83], v[70:71], v[72:73]
	v_add_f64 v[70:71], v[26:27], v[34:35]
	v_add_f64 v[26:27], v[26:27], -v[18:19]
	v_add_f64 v[18:19], v[18:19], v[44:45]
	v_fma_f64 v[84:85], v[70:71], -0.5, v[8:9]
	v_add_f64 v[70:71], v[24:25], v[32:33]
	v_add_f64 v[24:25], v[24:25], -v[16:17]
	v_add_f64 v[16:17], v[16:17], v[42:43]
	v_fma_f64 v[18:19], v[18:19], -0.5, v[8:9]
	v_add_f64 v[26:27], v[26:27], v[28:29]
	v_fma_f64 v[72:73], v[156:157], s[14:15], v[84:85]
	v_fma_f64 v[86:87], v[70:71], -0.5, v[10:11]
	v_add_f64 v[24:25], v[24:25], v[30:31]
	v_fma_f64 v[16:17], v[16:17], -0.5, v[10:11]
	v_fma_f64 v[10:11], v[158:159], s[16:17], v[18:19]
	v_fma_f64 v[18:19], v[158:159], s[14:15], v[18:19]
	;; [unrolled: 1-line block ×17, first 2 shown]
	v_mul_f64 v[24:25], v[18:19], s[18:19]
	v_mul_f64 v[74:75], v[70:71], s[6:7]
	;; [unrolled: 1-line block ×3, first 2 shown]
	v_fma_f64 v[24:25], v[16:17], s[14:15], v[24:25]
	v_mul_f64 v[16:17], v[16:17], s[18:19]
	v_fma_f64 v[74:75], v[72:73], s[22:23], v[74:75]
	v_mul_f64 v[72:73], v[72:73], s[12:13]
	;; [unrolled: 2-line block ×3, first 2 shown]
	v_fma_f64 v[26:27], v[18:19], s[16:17], v[16:17]
	v_fma_f64 v[76:77], v[70:71], s[22:23], v[72:73]
	;; [unrolled: 1-line block ×15, first 2 shown]
	v_add_f64 v[70:71], v[168:169], v[74:75]
	v_add_f64 v[74:75], v[168:169], -v[74:75]
	v_add_f64 v[8:9], v[28:29], v[12:13]
	v_add_f64 v[12:13], v[28:29], -v[12:13]
	v_fma_f64 v[28:29], v[162:163], s[14:15], v[90:91]
	v_add_f64 v[10:11], v[30:31], v[14:15]
	v_add_f64 v[14:15], v[30:31], -v[14:15]
	v_fma_f64 v[30:31], v[152:153], s[14:15], v[86:87]
	;; [unrolled: 3-line block ×3, first 2 shown]
	v_fma_f64 v[30:31], v[154:155], s[6:7], v[30:31]
	v_fma_f64 v[20:21], v[20:21], s[8:9], v[28:29]
	;; [unrolled: 1-line block ×3, first 2 shown]
	v_add_f64 v[16:17], v[20:21], v[24:25]
	v_fma_f64 v[28:29], v[164:165], s[6:7], v[28:29]
	v_add_f64 v[20:21], v[20:21], -v[24:25]
	v_fma_f64 v[24:25], v[156:157], s[16:17], v[84:85]
	v_fma_f64 v[22:23], v[22:23], s[8:9], v[28:29]
	v_fma_f64 v[28:29], v[164:165], s[14:15], v[92:93]
	v_fma_f64 v[24:25], v[158:159], s[12:13], v[24:25]
	v_add_f64 v[18:19], v[22:23], v[26:27]
	v_add_f64 v[22:23], v[22:23], -v[26:27]
	v_fma_f64 v[26:27], v[160:161], s[16:17], v[88:89]
	v_fma_f64 v[28:29], v[166:167], s[6:7], v[28:29]
	;; [unrolled: 1-line block ×5, first 2 shown]
	v_mul_f64 v[28:29], v[24:25], s[20:21]
	v_fma_f64 v[32:33], v[36:37], s[8:9], v[26:27]
	v_fma_f64 v[26:27], v[82:83], s[8:9], v[30:31]
	;; [unrolled: 1-line block ×3, first 2 shown]
	v_mul_f64 v[26:27], v[26:27], s[20:21]
	v_fma_f64 v[30:31], v[24:25], s[12:13], v[26:27]
	v_add_f64 v[24:25], v[32:33], v[28:29]
	v_add_f64 v[28:29], v[32:33], -v[28:29]
	v_add_f64 v[26:27], v[34:35], v[30:31]
	v_add_f64 v[30:31], v[34:35], -v[30:31]
	ds_write_b128 v184, v[142:145]
	ds_write_b128 v184, v[70:73] offset:160
	ds_write_b128 v184, v[8:11] offset:320
	;; [unrolled: 1-line block ×9, first 2 shown]
	v_add_co_u32 v12, vcc_lo, s10, v0
	v_add_co_ci_u32_e32 v13, vcc_lo, s11, v1, vcc_lo
	s_waitcnt lgkmcnt(0)
	s_barrier
	buffer_gl0_inv
	global_load_dwordx4 v[6:9], v[12:13], off offset:1440
	v_cmp_lt_u16_e32 vcc_lo, 0x63, v136
	s_waitcnt vmcnt(0)
	buffer_store_dword v6, off, s[28:31], 0 offset:328 ; 4-byte Folded Spill
	buffer_store_dword v7, off, s[28:31], 0 offset:332 ; 4-byte Folded Spill
	;; [unrolled: 1-line block ×4, first 2 shown]
	global_load_dwordx4 v[14:17], v[12:13], off offset:1456
	ds_read_b128 v[2:5], v40 offset:12800
	s_waitcnt vmcnt(0)
	buffer_store_dword v14, off, s[28:31], 0 offset:344 ; 4-byte Folded Spill
	buffer_store_dword v15, off, s[28:31], 0 offset:348 ; 4-byte Folded Spill
	;; [unrolled: 1-line block ×4, first 2 shown]
	s_waitcnt lgkmcnt(0)
	v_mul_f64 v[0:1], v[4:5], v[8:9]
	v_fma_f64 v[0:1], v[2:3], v[6:7], -v[0:1]
	v_mul_f64 v[2:3], v[2:3], v[8:9]
	ds_read_b128 v[8:11], v40 offset:25600
	v_fma_f64 v[2:3], v[4:5], v[6:7], v[2:3]
	s_waitcnt lgkmcnt(0)
	v_mul_f64 v[4:5], v[10:11], v[16:17]
	v_fma_f64 v[6:7], v[8:9], v[14:15], -v[4:5]
	v_mul_f64 v[4:5], v[8:9], v[16:17]
	v_fma_f64 v[8:9], v[10:11], v[14:15], v[4:5]
	global_load_dwordx4 v[14:17], v[12:13], off offset:1472
	s_waitcnt vmcnt(0)
	buffer_store_dword v14, off, s[28:31], 0 offset:360 ; 4-byte Folded Spill
	buffer_store_dword v15, off, s[28:31], 0 offset:364 ; 4-byte Folded Spill
	;; [unrolled: 1-line block ×4, first 2 shown]
	ds_read_b128 v[10:13], v40 offset:38400
	s_waitcnt lgkmcnt(0)
	v_mul_f64 v[4:5], v[12:13], v[16:17]
	v_fma_f64 v[4:5], v[10:11], v[14:15], -v[4:5]
	v_mul_f64 v[10:11], v[10:11], v[16:17]
	v_add_f64 v[94:95], v[0:1], -v[4:5]
	v_fma_f64 v[10:11], v[12:13], v[14:15], v[10:11]
	v_lshrrev_b16 v12, 2, v138
	ds_read_b128 v[14:17], v40 offset:15360
	v_mul_u32_u24_sdwa v12, v12, v48 dst_sel:DWORD dst_unused:UNUSED_PAD src0_sel:WORD_0 src1_sel:DWORD
	v_lshrrev_b32_e32 v54, 17, v12
	v_mul_lo_u16 v12, 0x64, v54
	v_sub_nc_u16 v55, v138, v12
	v_add_f64 v[92:93], v[2:3], -v[10:11]
	v_fma_f64 v[0:1], v[0:1], 2.0, -v[94:95]
	v_mul_lo_u16 v12, v55, 48
	v_and_b32_e32 v12, 0xffff, v12
	v_add_co_u32 v12, s26, s10, v12
	v_add_co_ci_u32_e64 v13, null, s11, 0, s26
	global_load_dwordx4 v[18:21], v[12:13], off offset:1440
	v_fma_f64 v[2:3], v[2:3], 2.0, -v[92:93]
	s_waitcnt vmcnt(0)
	v_mov_b32_e32 v23, v21
	v_mov_b32_e32 v22, v20
	;; [unrolled: 1-line block ×4, first 2 shown]
	buffer_store_dword v20, off, s[28:31], 0 offset:520 ; 4-byte Folded Spill
	buffer_store_dword v21, off, s[28:31], 0 offset:524 ; 4-byte Folded Spill
	;; [unrolled: 1-line block ×4, first 2 shown]
	s_waitcnt lgkmcnt(0)
	v_mul_f64 v[18:19], v[16:17], v[22:23]
	v_fma_f64 v[36:37], v[14:15], v[20:21], -v[18:19]
	v_mul_f64 v[14:15], v[14:15], v[22:23]
	v_fma_f64 v[38:39], v[16:17], v[20:21], v[14:15]
	global_load_dwordx4 v[20:23], v[12:13], off offset:1456
	s_waitcnt vmcnt(0)
	buffer_store_dword v20, off, s[28:31], 0 offset:536 ; 4-byte Folded Spill
	buffer_store_dword v21, off, s[28:31], 0 offset:540 ; 4-byte Folded Spill
	;; [unrolled: 1-line block ×4, first 2 shown]
	ds_read_b128 v[14:17], v40 offset:28160
	s_waitcnt lgkmcnt(0)
	v_mul_f64 v[18:19], v[16:17], v[22:23]
	v_fma_f64 v[52:53], v[14:15], v[20:21], -v[18:19]
	v_mul_f64 v[14:15], v[14:15], v[22:23]
	v_fma_f64 v[42:43], v[16:17], v[20:21], v[14:15]
	global_load_dwordx4 v[18:21], v[12:13], off offset:1472
	s_waitcnt vmcnt(0)
	buffer_store_dword v18, off, s[28:31], 0 offset:552 ; 4-byte Folded Spill
	buffer_store_dword v19, off, s[28:31], 0 offset:556 ; 4-byte Folded Spill
	;; [unrolled: 1-line block ×4, first 2 shown]
	ds_read_b128 v[12:15], v40 offset:40960
	s_waitcnt lgkmcnt(0)
	v_mul_f64 v[16:17], v[14:15], v[20:21]
	v_fma_f64 v[44:45], v[12:13], v[18:19], -v[16:17]
	v_mul_f64 v[12:13], v[12:13], v[20:21]
	v_fma_f64 v[46:47], v[14:15], v[18:19], v[12:13]
	v_lshrrev_b16 v12, 2, v57
	v_mul_u32_u24_sdwa v12, v12, v48 dst_sel:DWORD dst_unused:UNUSED_PAD src0_sel:WORD_0 src1_sel:DWORD
	v_lshrrev_b32_e32 v62, 17, v12
	v_mul_lo_u16 v12, 0x64, v62
	v_sub_nc_u16 v63, v57, v12
	v_mul_lo_u16 v12, v63, 48
	v_and_b32_e32 v12, 0xffff, v12
	v_add_co_u32 v16, s26, s10, v12
	v_add_co_ci_u32_e64 v17, null, s11, 0, s26
	global_load_dwordx4 v[20:23], v[16:17], off offset:1440
	s_waitcnt vmcnt(0)
	buffer_store_dword v20, off, s[28:31], 0 offset:568 ; 4-byte Folded Spill
	buffer_store_dword v21, off, s[28:31], 0 offset:572 ; 4-byte Folded Spill
	;; [unrolled: 1-line block ×4, first 2 shown]
	ds_read_b128 v[12:15], v40 offset:17920
	s_waitcnt lgkmcnt(0)
	v_mul_f64 v[18:19], v[14:15], v[22:23]
	v_fma_f64 v[24:25], v[12:13], v[20:21], -v[18:19]
	v_mul_f64 v[12:13], v[12:13], v[22:23]
	v_fma_f64 v[26:27], v[14:15], v[20:21], v[12:13]
	global_load_dwordx4 v[20:23], v[16:17], off offset:1456
	s_waitcnt vmcnt(0)
	buffer_store_dword v20, off, s[28:31], 0 offset:584 ; 4-byte Folded Spill
	buffer_store_dword v21, off, s[28:31], 0 offset:588 ; 4-byte Folded Spill
	buffer_store_dword v22, off, s[28:31], 0 offset:592 ; 4-byte Folded Spill
	buffer_store_dword v23, off, s[28:31], 0 offset:596 ; 4-byte Folded Spill
	ds_read_b128 v[12:15], v40 offset:30720
	s_waitcnt lgkmcnt(0)
	v_mul_f64 v[18:19], v[14:15], v[22:23]
	v_fma_f64 v[28:29], v[12:13], v[20:21], -v[18:19]
	v_mul_f64 v[12:13], v[12:13], v[22:23]
	v_fma_f64 v[30:31], v[14:15], v[20:21], v[12:13]
	global_load_dwordx4 v[18:21], v[16:17], off offset:1472
	s_waitcnt vmcnt(0)
	buffer_store_dword v18, off, s[28:31], 0 offset:600 ; 4-byte Folded Spill
	buffer_store_dword v19, off, s[28:31], 0 offset:604 ; 4-byte Folded Spill
	;; [unrolled: 1-line block ×4, first 2 shown]
	ds_read_b128 v[12:15], v40 offset:43520
	ds_read_b128 v[64:67], v40 offset:46080
	s_waitcnt lgkmcnt(1)
	v_mul_f64 v[16:17], v[14:15], v[20:21]
	v_fma_f64 v[32:33], v[12:13], v[18:19], -v[16:17]
	v_mul_f64 v[12:13], v[12:13], v[20:21]
	v_fma_f64 v[34:35], v[14:15], v[18:19], v[12:13]
	v_add_nc_u16 v12, v136, 0x1e0
	ds_read_b128 v[14:17], v40 offset:20480
	ds_read_b128 v[18:21], v40 offset:33280
	v_lshrrev_b16 v13, 2, v12
	v_mul_u32_u24_sdwa v13, v13, v48 dst_sel:DWORD dst_unused:UNUSED_PAD src0_sel:WORD_0 src1_sel:DWORD
	v_mul_u32_u24_sdwa v48, v49, v48 dst_sel:DWORD dst_unused:UNUSED_PAD src0_sel:WORD_0 src1_sel:DWORD
	v_lshrrev_b32_e32 v60, 17, v13
	v_lshrrev_b32_e32 v58, 17, v48
	v_mul_lo_u16 v13, 0x64, v60
	v_mul_lo_u16 v48, 0x64, v58
	v_sub_nc_u16 v61, v12, v13
	v_sub_nc_u16 v59, v41, v48
	v_mul_lo_u16 v12, v61, 48
	v_mul_lo_u16 v41, v59, 48
	v_and_b32_e32 v12, 0xffff, v12
	v_and_b32_e32 v41, 0xffff, v41
	v_add_co_u32 v22, s26, s10, v12
	v_add_co_ci_u32_e64 v23, null, s11, 0, s26
	v_add_co_u32 v68, s26, s10, v41
	v_add_co_ci_u32_e64 v69, null, s11, 0, s26
	s_clause 0x3
	global_load_dwordx4 v[192:195], v[22:23], off offset:1440
	global_load_dwordx4 v[196:199], v[22:23], off offset:1456
	;; [unrolled: 1-line block ×4, first 2 shown]
	v_cndmask_b32_e64 v41, 0, 0x190, vcc_lo
	v_add_lshl_u32 v191, v56, v41, 4
	s_waitcnt vmcnt(3) lgkmcnt(1)
	v_mul_f64 v[12:13], v[16:17], v[194:195]
	s_waitcnt vmcnt(1)
	v_mul_f64 v[22:23], v[64:65], v[202:203]
	v_fma_f64 v[12:13], v[14:15], v[192:193], -v[12:13]
	v_mul_f64 v[14:15], v[14:15], v[194:195]
	v_fma_f64 v[22:23], v[66:67], v[200:201], v[22:23]
	v_fma_f64 v[14:15], v[16:17], v[192:193], v[14:15]
	s_waitcnt lgkmcnt(0)
	v_mul_f64 v[16:17], v[20:21], v[198:199]
	v_fma_f64 v[16:17], v[18:19], v[196:197], -v[16:17]
	v_mul_f64 v[18:19], v[18:19], v[198:199]
	v_fma_f64 v[18:19], v[20:21], v[196:197], v[18:19]
	v_mul_f64 v[20:21], v[66:67], v[202:203]
	v_fma_f64 v[20:21], v[64:65], v[200:201], -v[20:21]
	ds_read_b128 v[64:67], v40 offset:23040
	s_waitcnt vmcnt(0)
	buffer_store_dword v70, off, s[28:31], 0 offset:616 ; 4-byte Folded Spill
	buffer_store_dword v71, off, s[28:31], 0 offset:620 ; 4-byte Folded Spill
	;; [unrolled: 1-line block ×4, first 2 shown]
	s_clause 0x1
	global_load_dwordx4 v[204:207], v[68:69], off offset:1456
	global_load_dwordx4 v[208:211], v[68:69], off offset:1472
	s_waitcnt lgkmcnt(0)
	v_mul_f64 v[48:49], v[66:67], v[72:73]
	v_mul_f64 v[50:51], v[64:65], v[72:73]
	v_fma_f64 v[48:49], v[64:65], v[70:71], -v[48:49]
	v_fma_f64 v[50:51], v[66:67], v[70:71], v[50:51]
	ds_read_b128 v[64:67], v40 offset:35840
	s_waitcnt vmcnt(1) lgkmcnt(0)
	v_mul_f64 v[70:71], v[66:67], v[206:207]
	v_fma_f64 v[80:81], v[64:65], v[204:205], -v[70:71]
	v_mul_f64 v[64:65], v[64:65], v[206:207]
	v_fma_f64 v[82:83], v[66:67], v[204:205], v[64:65]
	ds_read_b128 v[64:67], v40 offset:48640
	s_waitcnt vmcnt(0) lgkmcnt(0)
	v_mul_f64 v[68:69], v[66:67], v[210:211]
	v_fma_f64 v[84:85], v[64:65], v[208:209], -v[68:69]
	v_mul_f64 v[64:65], v[64:65], v[210:211]
	v_fma_f64 v[86:87], v[66:67], v[208:209], v[64:65]
	ds_read_b128 v[64:67], v40
	s_waitcnt lgkmcnt(0)
	v_add_f64 v[68:69], v[64:65], -v[6:7]
	v_add_f64 v[70:71], v[66:67], -v[8:9]
	v_fma_f64 v[88:89], v[64:65], 2.0, -v[68:69]
	v_fma_f64 v[90:91], v[66:67], 2.0, -v[70:71]
	v_add_f64 v[4:5], v[68:69], -v[92:93]
	v_add_f64 v[6:7], v[70:71], v[94:95]
	v_add_f64 v[0:1], v[88:89], -v[0:1]
	v_add_f64 v[2:3], v[90:91], -v[2:3]
	v_fma_f64 v[8:9], v[68:69], 2.0, -v[4:5]
	v_fma_f64 v[10:11], v[70:71], 2.0, -v[6:7]
	ds_read_b128 v[64:67], v40 offset:2560
	ds_read_b128 v[68:71], v40 offset:5120
	ds_read_b128 v[72:75], v40 offset:7680
	ds_read_b128 v[76:79], v40 offset:10240
	s_waitcnt lgkmcnt(0)
	s_waitcnt_vscnt null, 0x0
	s_barrier
	buffer_gl0_inv
	ds_write_b128 v191, v[4:7] offset:4800
	ds_write_b128 v191, v[8:11] offset:1600
	v_add_f64 v[8:9], v[64:65], -v[52:53]
	v_add_f64 v[10:11], v[66:67], -v[42:43]
	;; [unrolled: 1-line block ×4, first 2 shown]
	v_fma_f64 v[4:5], v[88:89], 2.0, -v[0:1]
	v_fma_f64 v[6:7], v[90:91], 2.0, -v[2:3]
	ds_write_b128 v191, v[0:3] offset:3200
	ds_write_b128 v191, v[4:7]
	v_fma_f64 v[4:5], v[64:65], 2.0, -v[8:9]
	v_fma_f64 v[6:7], v[66:67], 2.0, -v[10:11]
	;; [unrolled: 1-line block ×4, first 2 shown]
	v_mad_u16 v36, 0x190, v54, v55
	v_lshlrev_b32_sdwa v36, v137, v36 dst_sel:DWORD dst_unused:UNUSED_PAD src0_sel:DWORD src1_sel:WORD_0
	buffer_store_dword v36, off, s[28:31], 0 offset:644 ; 4-byte Folded Spill
	v_add_f64 v[0:1], v[4:5], -v[0:1]
	v_add_f64 v[2:3], v[6:7], -v[2:3]
	v_fma_f64 v[4:5], v[4:5], 2.0, -v[0:1]
	v_fma_f64 v[6:7], v[6:7], 2.0, -v[2:3]
	ds_write_b128 v36, v[4:7]
	v_add_f64 v[4:5], v[8:9], -v[43:44]
	v_add_f64 v[6:7], v[10:11], v[41:42]
	v_fma_f64 v[8:9], v[8:9], 2.0, -v[4:5]
	v_fma_f64 v[10:11], v[10:11], 2.0, -v[6:7]
	ds_write_b128 v36, v[8:11] offset:1600
	v_add_f64 v[8:9], v[68:69], -v[28:29]
	v_add_f64 v[10:11], v[70:71], -v[30:31]
	;; [unrolled: 1-line block ×4, first 2 shown]
	ds_write_b128 v36, v[0:3] offset:3200
	ds_write_b128 v36, v[4:7] offset:4800
	v_fma_f64 v[4:5], v[68:69], 2.0, -v[8:9]
	v_fma_f64 v[6:7], v[70:71], 2.0, -v[10:11]
	;; [unrolled: 1-line block ×4, first 2 shown]
	v_mad_u16 v24, 0x190, v62, v63
	v_lshlrev_b32_sdwa v190, v137, v24 dst_sel:DWORD dst_unused:UNUSED_PAD src0_sel:DWORD src1_sel:WORD_0
	v_add_f64 v[0:1], v[4:5], -v[0:1]
	v_add_f64 v[2:3], v[6:7], -v[2:3]
	v_fma_f64 v[4:5], v[4:5], 2.0, -v[0:1]
	v_fma_f64 v[6:7], v[6:7], 2.0, -v[2:3]
	ds_write_b128 v190, v[4:7]
	v_add_f64 v[4:5], v[8:9], -v[30:31]
	v_add_f64 v[6:7], v[10:11], v[28:29]
	v_fma_f64 v[8:9], v[8:9], 2.0, -v[4:5]
	v_fma_f64 v[10:11], v[10:11], 2.0, -v[6:7]
	ds_write_b128 v190, v[8:11] offset:1600
	ds_write_b128 v190, v[0:3] offset:3200
	;; [unrolled: 1-line block ×3, first 2 shown]
	v_add_f64 v[8:9], v[72:73], -v[16:17]
	v_add_f64 v[10:11], v[74:75], -v[18:19]
	;; [unrolled: 1-line block ×4, first 2 shown]
	v_fma_f64 v[4:5], v[72:73], 2.0, -v[8:9]
	v_fma_f64 v[6:7], v[74:75], 2.0, -v[10:11]
	;; [unrolled: 1-line block ×4, first 2 shown]
	v_mad_u16 v12, 0x190, v60, v61
	v_add_f64 v[14:15], v[50:51], -v[86:87]
	v_lshlrev_b32_sdwa v182, v137, v12 dst_sel:DWORD dst_unused:UNUSED_PAD src0_sel:DWORD src1_sel:WORD_0
	v_add_f64 v[12:13], v[48:49], -v[84:85]
	v_add_f64 v[0:1], v[4:5], -v[0:1]
	;; [unrolled: 1-line block ×3, first 2 shown]
	v_fma_f64 v[4:5], v[4:5], 2.0, -v[0:1]
	v_fma_f64 v[6:7], v[6:7], 2.0, -v[2:3]
	ds_write_b128 v182, v[4:7]
	v_add_f64 v[4:5], v[8:9], -v[18:19]
	v_add_f64 v[6:7], v[10:11], v[16:17]
	v_mad_u16 v16, 0x190, v58, v59
	v_mad_u64_u32 v[59:60], null, v139, 48, s[10:11]
	v_lshlrev_b32_sdwa v183, v137, v16 dst_sel:DWORD dst_unused:UNUSED_PAD src0_sel:DWORD src1_sel:WORD_0
	v_fma_f64 v[8:9], v[8:9], 2.0, -v[4:5]
	v_fma_f64 v[10:11], v[10:11], 2.0, -v[6:7]
	ds_write_b128 v182, v[8:11] offset:1600
	ds_write_b128 v182, v[0:3] offset:3200
	;; [unrolled: 1-line block ×3, first 2 shown]
	v_add_f64 v[8:9], v[76:77], -v[80:81]
	v_add_f64 v[10:11], v[78:79], -v[82:83]
	v_fma_f64 v[0:1], v[48:49], 2.0, -v[12:13]
	v_fma_f64 v[2:3], v[50:51], 2.0, -v[14:15]
	;; [unrolled: 1-line block ×4, first 2 shown]
	v_add_f64 v[0:1], v[4:5], -v[0:1]
	v_add_f64 v[2:3], v[6:7], -v[2:3]
	v_fma_f64 v[4:5], v[4:5], 2.0, -v[0:1]
	v_fma_f64 v[6:7], v[6:7], 2.0, -v[2:3]
	ds_write_b128 v183, v[4:7]
	v_add_f64 v[4:5], v[8:9], -v[14:15]
	v_add_f64 v[6:7], v[10:11], v[12:13]
	v_fma_f64 v[8:9], v[8:9], 2.0, -v[4:5]
	v_fma_f64 v[10:11], v[10:11], 2.0, -v[6:7]
	ds_write_b128 v183, v[8:11] offset:1600
	ds_write_b128 v183, v[0:3] offset:3200
	;; [unrolled: 1-line block ×3, first 2 shown]
	v_add_co_u32 v0, vcc_lo, 0x1800, v59
	v_add_co_ci_u32_e32 v1, vcc_lo, 0, v60, vcc_lo
	buffer_store_dword v139, off, s[28:31], 0 offset:640 ; 4-byte Folded Spill
	s_waitcnt lgkmcnt(0)
	s_waitcnt_vscnt null, 0x0
	s_barrier
	buffer_gl0_inv
	global_load_dwordx4 v[216:219], v[0:1], off offset:96
	v_add_co_u32 v8, vcc_lo, 0x1860, v59
	v_add_co_ci_u32_e32 v9, vcc_lo, 0, v60, vcc_lo
	ds_read_b128 v[2:5], v40 offset:12800
	s_clause 0x1
	global_load_dwordx4 v[220:223], v[8:9], off offset:16
	global_load_dwordx4 v[224:227], v[8:9], off offset:32
	s_waitcnt vmcnt(2) lgkmcnt(0)
	v_mul_f64 v[0:1], v[4:5], v[218:219]
	v_fma_f64 v[0:1], v[2:3], v[216:217], -v[0:1]
	v_mul_f64 v[2:3], v[2:3], v[218:219]
	v_fma_f64 v[2:3], v[4:5], v[216:217], v[2:3]
	ds_read_b128 v[4:7], v40 offset:25600
	s_waitcnt vmcnt(1) lgkmcnt(0)
	v_mul_f64 v[10:11], v[6:7], v[222:223]
	v_fma_f64 v[46:47], v[4:5], v[220:221], -v[10:11]
	v_mul_f64 v[4:5], v[4:5], v[222:223]
	v_fma_f64 v[48:49], v[6:7], v[220:221], v[4:5]
	ds_read_b128 v[4:7], v40 offset:38400
	s_waitcnt vmcnt(0) lgkmcnt(0)
	v_mul_f64 v[8:9], v[6:7], v[226:227]
	v_fma_f64 v[44:45], v[4:5], v[224:225], -v[8:9]
	v_mul_f64 v[4:5], v[4:5], v[226:227]
	v_add_f64 v[85:86], v[0:1], -v[44:45]
	v_fma_f64 v[50:51], v[6:7], v[224:225], v[4:5]
	v_add_co_u32 v4, vcc_lo, 0x3000, v59
	v_add_co_ci_u32_e32 v5, vcc_lo, 0, v60, vcc_lo
	v_add_co_u32 v12, vcc_lo, 0x3660, v59
	v_add_co_ci_u32_e32 v13, vcc_lo, 0, v60, vcc_lo
	global_load_dwordx4 v[212:215], v[4:5], off offset:1632
	ds_read_b128 v[6:9], v40 offset:15360
	v_cmp_gt_u16_e32 vcc_lo, 0x50, v136
	s_clause 0x1
	global_load_dwordx4 v[232:235], v[12:13], off offset:16
	global_load_dwordx4 v[236:239], v[12:13], off offset:32
	v_fma_f64 v[0:1], v[0:1], 2.0, -v[85:86]
	v_add_f64 v[83:84], v[2:3], -v[50:51]
	v_fma_f64 v[2:3], v[2:3], 2.0, -v[83:84]
	s_waitcnt vmcnt(2) lgkmcnt(0)
	v_mul_f64 v[4:5], v[8:9], v[214:215]
	v_fma_f64 v[4:5], v[6:7], v[212:213], -v[4:5]
	v_mul_f64 v[6:7], v[6:7], v[214:215]
	v_fma_f64 v[6:7], v[8:9], v[212:213], v[6:7]
	ds_read_b128 v[8:11], v40 offset:28160
	s_waitcnt vmcnt(1) lgkmcnt(0)
	v_mul_f64 v[14:15], v[10:11], v[234:235]
	v_fma_f64 v[32:33], v[8:9], v[232:233], -v[14:15]
	v_mul_f64 v[8:9], v[8:9], v[234:235]
	v_fma_f64 v[34:35], v[10:11], v[232:233], v[8:9]
	ds_read_b128 v[8:11], v40 offset:40960
	s_waitcnt vmcnt(0) lgkmcnt(0)
	v_mul_f64 v[12:13], v[10:11], v[238:239]
	v_fma_f64 v[36:37], v[8:9], v[236:237], -v[12:13]
	v_mul_f64 v[8:9], v[8:9], v[238:239]
	v_add_f64 v[89:90], v[4:5], -v[36:37]
	v_fma_f64 v[38:39], v[10:11], v[236:237], v[8:9]
	v_add_nc_u32_e32 v8, 0xffffffb0, v139
	v_cndmask_b32_e32 v54, v8, v57, vcc_lo
	ds_read_b128 v[55:58], v40 offset:46080
	v_mul_i32_i24_e32 v8, 48, v54
	v_add_co_u32 v14, vcc_lo, s10, v8
	v_mul_hi_i32_i24_e32 v8, 48, v54
	v_add_f64 v[87:88], v[6:7], -v[38:39]
	v_add_co_ci_u32_e32 v15, vcc_lo, s11, v8, vcc_lo
	v_add_co_u32 v8, vcc_lo, 0x1800, v14
	v_add_co_ci_u32_e32 v9, vcc_lo, 0, v15, vcc_lo
	global_load_dwordx4 v[240:243], v[8:9], off offset:96
	ds_read_b128 v[8:11], v40 offset:17920
	s_waitcnt vmcnt(0) lgkmcnt(0)
	v_mul_f64 v[12:13], v[10:11], v[242:243]
	v_fma_f64 v[20:21], v[8:9], v[240:241], -v[12:13]
	v_add_co_u32 v12, vcc_lo, 0x1860, v14
	v_add_co_ci_u32_e32 v13, vcc_lo, 0, v15, vcc_lo
	v_mul_f64 v[8:9], v[8:9], v[242:243]
	s_clause 0x1
	global_load_dwordx4 v[244:247], v[12:13], off offset:16
	global_load_dwordx4 v[248:251], v[12:13], off offset:32
	v_fma_f64 v[22:23], v[10:11], v[240:241], v[8:9]
	ds_read_b128 v[8:11], v40 offset:30720
	s_waitcnt vmcnt(1) lgkmcnt(0)
	v_mul_f64 v[14:15], v[10:11], v[246:247]
	v_fma_f64 v[24:25], v[8:9], v[244:245], -v[14:15]
	v_mul_f64 v[8:9], v[8:9], v[246:247]
	ds_read_b128 v[14:17], v40 offset:33280
	v_fma_f64 v[26:27], v[10:11], v[244:245], v[8:9]
	ds_read_b128 v[8:11], v40 offset:43520
	s_waitcnt vmcnt(0) lgkmcnt(0)
	v_mul_f64 v[12:13], v[10:11], v[250:251]
	v_fma_f64 v[28:29], v[8:9], v[248:249], -v[12:13]
	v_mul_f64 v[8:9], v[8:9], v[250:251]
	v_add_f64 v[28:29], v[20:21], -v[28:29]
	v_fma_f64 v[30:31], v[10:11], v[248:249], v[8:9]
	v_add_co_u32 v8, vcc_lo, 0x2000, v59
	v_add_co_ci_u32_e32 v9, vcc_lo, 0, v60, vcc_lo
	v_add_co_u32 v18, vcc_lo, 0x2760, v59
	v_add_co_ci_u32_e32 v19, vcc_lo, 0, v60, vcc_lo
	global_load_dwordx4 v[252:255], v[8:9], off offset:1888
	v_add_co_u32 v41, vcc_lo, 0x4000, v59
	s_clause 0x1
	global_load_dwordx4 v[186:189], v[18:19], off offset:16
	global_load_dwordx4 v[178:181], v[18:19], off offset:32
	v_add_co_ci_u32_e32 v42, vcc_lo, 0, v60, vcc_lo
	v_add_co_u32 v59, vcc_lo, 0x4560, v59
	v_add_co_ci_u32_e32 v60, vcc_lo, 0, v60, vcc_lo
	global_load_dwordx4 v[228:231], v[41:42], off offset:1376
	ds_read_b128 v[10:13], v40 offset:20480
	v_add_f64 v[30:31], v[22:23], -v[30:31]
	s_clause 0x1
	global_load_dwordx4 v[172:175], v[59:60], off offset:16
	global_load_dwordx4 v[168:171], v[59:60], off offset:32
	v_cmp_lt_u16_e32 vcc_lo, 0x4f, v136
	s_waitcnt vmcnt(5) lgkmcnt(0)
	v_mul_f64 v[8:9], v[12:13], v[254:255]
	s_waitcnt vmcnt(3)
	v_mul_f64 v[18:19], v[55:56], v[180:181]
	v_fma_f64 v[8:9], v[10:11], v[252:253], -v[8:9]
	v_mul_f64 v[10:11], v[10:11], v[254:255]
	v_fma_f64 v[18:19], v[57:58], v[178:179], v[18:19]
	v_fma_f64 v[10:11], v[12:13], v[252:253], v[10:11]
	v_mul_f64 v[12:13], v[16:17], v[188:189]
	v_add_f64 v[18:19], v[10:11], -v[18:19]
	v_fma_f64 v[12:13], v[14:15], v[186:187], -v[12:13]
	v_mul_f64 v[14:15], v[14:15], v[188:189]
	v_fma_f64 v[14:15], v[16:17], v[186:187], v[14:15]
	v_mul_f64 v[16:17], v[57:58], v[180:181]
	v_fma_f64 v[16:17], v[55:56], v[178:179], -v[16:17]
	ds_read_b128 v[55:58], v40 offset:23040
	s_waitcnt vmcnt(2) lgkmcnt(0)
	v_mul_f64 v[41:42], v[57:58], v[230:231]
	v_add_f64 v[16:17], v[8:9], -v[16:17]
	v_fma_f64 v[52:53], v[55:56], v[228:229], -v[41:42]
	v_mul_f64 v[41:42], v[55:56], v[230:231]
	v_fma_f64 v[42:43], v[57:58], v[228:229], v[41:42]
	ds_read_b128 v[55:58], v40 offset:35840
	v_add_co_u32 v41, s10, s10, v40
	s_waitcnt vmcnt(1) lgkmcnt(0)
	v_mul_f64 v[61:62], v[57:58], v[174:175]
	v_fma_f64 v[71:72], v[55:56], v[172:173], -v[61:62]
	v_mul_f64 v[55:56], v[55:56], v[174:175]
	v_fma_f64 v[73:74], v[57:58], v[172:173], v[55:56]
	ds_read_b128 v[55:58], v40 offset:48640
	s_waitcnt vmcnt(0) lgkmcnt(0)
	v_mul_f64 v[59:60], v[57:58], v[170:171]
	v_fma_f64 v[75:76], v[55:56], v[168:169], -v[59:60]
	v_mul_f64 v[55:56], v[55:56], v[170:171]
	v_fma_f64 v[77:78], v[57:58], v[168:169], v[55:56]
	ds_read_b128 v[55:58], v40
	s_waitcnt lgkmcnt(0)
	v_add_f64 v[59:60], v[55:56], -v[46:47]
	v_add_f64 v[61:62], v[57:58], -v[48:49]
	;; [unrolled: 1-line block ×3, first 2 shown]
	v_add_f64 v[46:47], v[61:62], v[85:86]
	v_fma_f64 v[79:80], v[55:56], 2.0, -v[59:60]
	v_fma_f64 v[81:82], v[57:58], 2.0, -v[61:62]
	;; [unrolled: 1-line block ×4, first 2 shown]
	ds_read_b128 v[55:58], v40 offset:2560
	ds_read_b128 v[59:62], v40 offset:5120
	;; [unrolled: 1-line block ×4, first 2 shown]
	s_waitcnt lgkmcnt(0)
	s_barrier
	buffer_gl0_inv
	ds_write_b128 v40, v[44:47] offset:19200
	v_add_f64 v[0:1], v[79:80], -v[0:1]
	v_add_f64 v[2:3], v[81:82], -v[2:3]
	v_add_f64 v[44:45], v[55:56], -v[32:33]
	v_add_f64 v[46:47], v[57:58], -v[34:35]
	v_add_f64 v[24:25], v[59:60], -v[24:25]
	v_add_f64 v[26:27], v[61:62], -v[26:27]
	v_add_f64 v[12:13], v[63:64], -v[12:13]
	v_add_f64 v[14:15], v[65:66], -v[14:15]
	v_add_f64 v[32:33], v[44:45], -v[87:88]
	v_add_f64 v[34:35], v[46:47], v[89:90]
	v_fma_f64 v[55:56], v[55:56], 2.0, -v[44:45]
	v_fma_f64 v[57:58], v[57:58], 2.0, -v[46:47]
	ds_write_b128 v40, v[32:35] offset:21760
	ds_write_b128 v40, v[48:51] offset:6400
	v_fma_f64 v[36:37], v[44:45], 2.0, -v[32:33]
	v_fma_f64 v[38:39], v[46:47], 2.0, -v[34:35]
	;; [unrolled: 1-line block ×4, first 2 shown]
	ds_write_b128 v40, v[0:3] offset:12800
	ds_write_b128 v40, v[36:39] offset:8960
	v_fma_f64 v[0:1], v[4:5], 2.0, -v[89:90]
	v_fma_f64 v[2:3], v[6:7], 2.0, -v[87:88]
	v_add_f64 v[0:1], v[55:56], -v[0:1]
	v_add_f64 v[2:3], v[57:58], -v[2:3]
	v_fma_f64 v[4:5], v[55:56], 2.0, -v[0:1]
	v_fma_f64 v[6:7], v[57:58], 2.0, -v[2:3]
	ds_write_b128 v40, v[0:3] offset:15360
	ds_write_b128 v40, v[32:35]
	ds_write_b128 v40, v[4:7] offset:2560
	v_fma_f64 v[4:5], v[59:60], 2.0, -v[24:25]
	v_fma_f64 v[6:7], v[61:62], 2.0, -v[26:27]
	;; [unrolled: 1-line block ×4, first 2 shown]
	v_cndmask_b32_e64 v20, 0, 0x640, vcc_lo
	v_add_lshl_u32 v32, v54, v20, 4
	buffer_store_dword v32, off, s[28:31], 0 offset:648 ; 4-byte Folded Spill
	v_add_f64 v[0:1], v[4:5], -v[0:1]
	v_add_f64 v[2:3], v[6:7], -v[2:3]
	v_fma_f64 v[4:5], v[4:5], 2.0, -v[0:1]
	v_fma_f64 v[6:7], v[6:7], 2.0, -v[2:3]
	ds_write_b128 v32, v[4:7]
	v_add_f64 v[4:5], v[24:25], -v[30:31]
	v_add_f64 v[6:7], v[26:27], v[28:29]
	v_fma_f64 v[20:21], v[24:25], 2.0, -v[4:5]
	v_fma_f64 v[22:23], v[26:27], 2.0, -v[6:7]
	ds_write_b128 v32, v[20:23] offset:6400
	ds_write_b128 v32, v[0:3] offset:12800
	;; [unrolled: 1-line block ×3, first 2 shown]
	v_fma_f64 v[4:5], v[63:64], 2.0, -v[12:13]
	v_fma_f64 v[6:7], v[65:66], 2.0, -v[14:15]
	;; [unrolled: 1-line block ×4, first 2 shown]
	v_add_f64 v[0:1], v[4:5], -v[0:1]
	v_add_f64 v[2:3], v[6:7], -v[2:3]
	v_fma_f64 v[4:5], v[4:5], 2.0, -v[0:1]
	v_fma_f64 v[6:7], v[6:7], 2.0, -v[2:3]
	ds_write_b128 v40, v[4:7] offset:26880
	v_add_f64 v[4:5], v[12:13], -v[18:19]
	v_add_f64 v[6:7], v[14:15], v[16:17]
	v_fma_f64 v[8:9], v[12:13], 2.0, -v[4:5]
	v_fma_f64 v[10:11], v[14:15], 2.0, -v[6:7]
	ds_write_b128 v40, v[8:11] offset:33280
	ds_write_b128 v40, v[0:3] offset:39680
	;; [unrolled: 1-line block ×3, first 2 shown]
	v_add_f64 v[8:9], v[67:68], -v[71:72]
	v_add_f64 v[10:11], v[69:70], -v[73:74]
	;; [unrolled: 1-line block ×4, first 2 shown]
	v_fma_f64 v[4:5], v[67:68], 2.0, -v[8:9]
	v_fma_f64 v[6:7], v[69:70], 2.0, -v[10:11]
	;; [unrolled: 1-line block ×4, first 2 shown]
	v_add_co_ci_u32_e64 v42, null, s11, 0, s10
	v_add_f64 v[0:1], v[4:5], -v[0:1]
	v_add_f64 v[2:3], v[6:7], -v[2:3]
	v_fma_f64 v[4:5], v[4:5], 2.0, -v[0:1]
	v_fma_f64 v[6:7], v[6:7], 2.0, -v[2:3]
	ds_write_b128 v40, v[4:7] offset:29440
	v_add_f64 v[4:5], v[8:9], -v[14:15]
	v_add_f64 v[6:7], v[10:11], v[12:13]
	v_fma_f64 v[8:9], v[8:9], 2.0, -v[4:5]
	v_fma_f64 v[10:11], v[10:11], 2.0, -v[6:7]
	ds_write_b128 v40, v[8:11] offset:35840
	ds_write_b128 v40, v[0:3] offset:42240
	ds_write_b128 v40, v[4:7] offset:48640
	v_add_co_u32 v0, vcc_lo, 0x6000, v41
	v_add_co_ci_u32_e32 v1, vcc_lo, 0, v42, vcc_lo
	s_waitcnt lgkmcnt(0)
	s_waitcnt_vscnt null, 0x0
	s_barrier
	buffer_gl0_inv
	global_load_dwordx4 v[164:167], v[0:1], off offset:864
	ds_read_b128 v[0:3], v40 offset:25600
	ds_read_b128 v[76:79], v40 offset:23040
	s_waitcnt vmcnt(0) lgkmcnt(1)
	v_mul_f64 v[4:5], v[2:3], v[166:167]
	v_fma_f64 v[4:5], v[0:1], v[164:165], -v[4:5]
	v_mul_f64 v[0:1], v[0:1], v[166:167]
	v_fma_f64 v[6:7], v[2:3], v[164:165], v[0:1]
	v_add_co_u32 v0, vcc_lo, 0x6800, v41
	v_add_co_ci_u32_e32 v1, vcc_lo, 0, v42, vcc_lo
	global_load_dwordx4 v[160:163], v[0:1], off offset:1376
	ds_read_b128 v[0:3], v40 offset:28160
	s_waitcnt vmcnt(0) lgkmcnt(0)
	v_mul_f64 v[8:9], v[2:3], v[162:163]
	v_fma_f64 v[8:9], v[0:1], v[160:161], -v[8:9]
	v_mul_f64 v[0:1], v[0:1], v[162:163]
	v_fma_f64 v[10:11], v[2:3], v[160:161], v[0:1]
	v_add_co_u32 v0, vcc_lo, 0x7000, v41
	v_add_co_ci_u32_e32 v1, vcc_lo, 0, v42, vcc_lo
	global_load_dwordx4 v[156:159], v[0:1], off offset:1888
	ds_read_b128 v[0:3], v40 offset:30720
	s_waitcnt vmcnt(0) lgkmcnt(0)
	v_mul_f64 v[12:13], v[2:3], v[158:159]
	v_fma_f64 v[12:13], v[0:1], v[156:157], -v[12:13]
	v_mul_f64 v[0:1], v[0:1], v[158:159]
	v_fma_f64 v[14:15], v[2:3], v[156:157], v[0:1]
	v_add_co_u32 v0, vcc_lo, 0x8000, v41
	v_add_co_ci_u32_e32 v1, vcc_lo, 0, v42, vcc_lo
	global_load_dwordx4 v[152:155], v[0:1], off offset:352
	ds_read_b128 v[0:3], v40 offset:33280
	s_waitcnt vmcnt(0) lgkmcnt(0)
	v_mul_f64 v[16:17], v[2:3], v[154:155]
	v_fma_f64 v[16:17], v[0:1], v[152:153], -v[16:17]
	v_mul_f64 v[0:1], v[0:1], v[154:155]
	v_fma_f64 v[18:19], v[2:3], v[152:153], v[0:1]
	v_add_co_u32 v0, vcc_lo, 0x8800, v41
	v_add_co_ci_u32_e32 v1, vcc_lo, 0, v42, vcc_lo
	global_load_dwordx4 v[148:151], v[0:1], off offset:864
	ds_read_b128 v[0:3], v40 offset:35840
	s_waitcnt vmcnt(0) lgkmcnt(0)
	v_mul_f64 v[20:21], v[2:3], v[150:151]
	v_fma_f64 v[20:21], v[0:1], v[148:149], -v[20:21]
	v_mul_f64 v[0:1], v[0:1], v[150:151]
	v_fma_f64 v[22:23], v[2:3], v[148:149], v[0:1]
	v_add_co_u32 v0, vcc_lo, 0x9000, v41
	v_add_co_ci_u32_e32 v1, vcc_lo, 0, v42, vcc_lo
	global_load_dwordx4 v[144:147], v[0:1], off offset:1376
	ds_read_b128 v[0:3], v40 offset:38400
	s_waitcnt vmcnt(0) lgkmcnt(0)
	v_mul_f64 v[24:25], v[2:3], v[146:147]
	v_fma_f64 v[24:25], v[0:1], v[144:145], -v[24:25]
	v_mul_f64 v[0:1], v[0:1], v[146:147]
	v_fma_f64 v[26:27], v[2:3], v[144:145], v[0:1]
	v_add_co_u32 v0, vcc_lo, 0x9800, v41
	v_add_co_ci_u32_e32 v1, vcc_lo, 0, v42, vcc_lo
	global_load_dwordx4 v[140:143], v[0:1], off offset:1888
	ds_read_b128 v[0:3], v40 offset:40960
	s_waitcnt vmcnt(0) lgkmcnt(0)
	v_mul_f64 v[28:29], v[2:3], v[142:143]
	v_fma_f64 v[28:29], v[0:1], v[140:141], -v[28:29]
	v_mul_f64 v[0:1], v[0:1], v[142:143]
	v_fma_f64 v[30:31], v[2:3], v[140:141], v[0:1]
	v_add_co_u32 v0, vcc_lo, 0xa800, v41
	v_add_co_ci_u32_e32 v1, vcc_lo, 0, v42, vcc_lo
	global_load_dwordx4 v[136:139], v[0:1], off offset:352
	ds_read_b128 v[0:3], v40 offset:43520
	s_waitcnt vmcnt(0) lgkmcnt(0)
	v_mul_f64 v[32:33], v[2:3], v[138:139]
	v_fma_f64 v[32:33], v[0:1], v[136:137], -v[32:33]
	v_mul_f64 v[0:1], v[0:1], v[138:139]
	v_fma_f64 v[34:35], v[2:3], v[136:137], v[0:1]
	v_add_co_u32 v0, vcc_lo, 0xb000, v41
	v_add_co_ci_u32_e32 v1, vcc_lo, 0, v42, vcc_lo
	global_load_dwordx4 v[92:95], v[0:1], off offset:864
	ds_read_b128 v[0:3], v40 offset:46080
	s_waitcnt vmcnt(0) lgkmcnt(0)
	v_mul_f64 v[36:37], v[2:3], v[94:95]
	v_fma_f64 v[36:37], v[0:1], v[92:93], -v[36:37]
	v_mul_f64 v[0:1], v[0:1], v[94:95]
	v_fma_f64 v[38:39], v[2:3], v[92:93], v[0:1]
	v_add_co_u32 v0, vcc_lo, 0xb800, v41
	v_add_co_ci_u32_e32 v1, vcc_lo, 0, v42, vcc_lo
	global_load_dwordx4 v[88:91], v[0:1], off offset:1376
	ds_read_b128 v[0:3], v40 offset:48640
	s_waitcnt vmcnt(0) lgkmcnt(0)
	v_mul_f64 v[41:42], v[2:3], v[90:91]
	v_fma_f64 v[41:42], v[0:1], v[88:89], -v[41:42]
	v_mul_f64 v[0:1], v[0:1], v[90:91]
	v_add_f64 v[80:81], v[76:77], -v[41:42]
	v_fma_f64 v[82:83], v[2:3], v[88:89], v[0:1]
	ds_read_b128 v[0:3], v40
	s_waitcnt lgkmcnt(0)
	v_add_f64 v[68:69], v[0:1], -v[4:5]
	v_add_f64 v[70:71], v[2:3], -v[6:7]
	ds_read_b128 v[4:7], v40 offset:2560
	v_add_f64 v[82:83], v[78:79], -v[82:83]
	v_fma_f64 v[76:77], v[76:77], 2.0, -v[80:81]
	s_waitcnt lgkmcnt(0)
	v_add_f64 v[64:65], v[4:5], -v[8:9]
	v_add_f64 v[66:67], v[6:7], -v[10:11]
	ds_read_b128 v[8:11], v40 offset:5120
	v_fma_f64 v[0:1], v[0:1], 2.0, -v[68:69]
	v_fma_f64 v[2:3], v[2:3], 2.0, -v[70:71]
	v_fma_f64 v[78:79], v[78:79], 2.0, -v[82:83]
	s_waitcnt lgkmcnt(0)
	v_add_f64 v[60:61], v[8:9], -v[12:13]
	v_add_f64 v[62:63], v[10:11], -v[14:15]
	ds_read_b128 v[12:15], v40 offset:7680
	v_fma_f64 v[4:5], v[4:5], 2.0, -v[64:65]
	v_fma_f64 v[6:7], v[6:7], 2.0, -v[66:67]
	s_waitcnt lgkmcnt(0)
	v_add_f64 v[56:57], v[12:13], -v[16:17]
	v_add_f64 v[58:59], v[14:15], -v[18:19]
	ds_read_b128 v[16:19], v40 offset:10240
	v_fma_f64 v[8:9], v[8:9], 2.0, -v[60:61]
	v_fma_f64 v[10:11], v[10:11], 2.0, -v[62:63]
	;; [unrolled: 6-line block ×6, first 2 shown]
	s_waitcnt lgkmcnt(0)
	v_add_f64 v[36:37], v[32:33], -v[36:37]
	v_add_f64 v[38:39], v[34:35], -v[38:39]
	v_fma_f64 v[28:29], v[28:29], 2.0, -v[72:73]
	v_fma_f64 v[30:31], v[30:31], 2.0, -v[74:75]
	v_fma_f64 v[32:33], v[32:33], 2.0, -v[36:37]
	v_fma_f64 v[34:35], v[34:35], 2.0, -v[38:39]
	ds_write_b128 v40, v[68:71] offset:25600
	ds_write_b128 v40, v[64:67] offset:28160
	;; [unrolled: 1-line block ×10, first 2 shown]
	ds_write_b128 v40, v[0:3]
	ds_write_b128 v40, v[4:7] offset:2560
	ds_write_b128 v40, v[8:11] offset:5120
	;; [unrolled: 1-line block ×9, first 2 shown]
	s_waitcnt lgkmcnt(0)
	s_barrier
	buffer_gl0_inv
	global_load_dwordx4 v[0:3], v40, s[24:25]
	ds_read_b128 v[4:7], v40
	v_add_co_u32 v77, s10, s24, v40
	v_add_co_ci_u32_e64 v78, null, s25, 0, s10
	s_waitcnt vmcnt(0) lgkmcnt(0)
	v_mul_f64 v[8:9], v[6:7], v[2:3]
	v_mul_f64 v[2:3], v[4:5], v[2:3]
	v_fma_f64 v[84:85], v[4:5], v[0:1], -v[8:9]
	v_fma_f64 v[86:87], v[6:7], v[0:1], v[2:3]
	v_add_co_u32 v0, vcc_lo, 0x1000, v77
	v_add_co_ci_u32_e32 v1, vcc_lo, 0, v78, vcc_lo
	ds_read_b128 v[4:7], v40 offset:5120
	global_load_dwordx4 v[0:3], v[0:1], off offset:1024
	s_waitcnt vmcnt(0) lgkmcnt(0)
	v_mul_f64 v[8:9], v[6:7], v[2:3]
	v_mul_f64 v[2:3], v[4:5], v[2:3]
	v_fma_f64 v[73:74], v[4:5], v[0:1], -v[8:9]
	v_fma_f64 v[75:76], v[6:7], v[0:1], v[2:3]
	v_add_co_u32 v0, vcc_lo, 0x2800, v77
	v_add_co_ci_u32_e32 v1, vcc_lo, 0, v78, vcc_lo
	ds_read_b128 v[4:7], v40 offset:10240
	global_load_dwordx4 v[0:3], v[0:1], off
	s_waitcnt vmcnt(0) lgkmcnt(0)
	v_mul_f64 v[8:9], v[6:7], v[2:3]
	v_mul_f64 v[2:3], v[4:5], v[2:3]
	v_fma_f64 v[69:70], v[4:5], v[0:1], -v[8:9]
	v_fma_f64 v[71:72], v[6:7], v[0:1], v[2:3]
	v_add_co_u32 v0, vcc_lo, 0x3800, v77
	v_add_co_ci_u32_e32 v1, vcc_lo, 0, v78, vcc_lo
	ds_read_b128 v[4:7], v40 offset:15360
	global_load_dwordx4 v[0:3], v[0:1], off offset:1024
	s_waitcnt vmcnt(0) lgkmcnt(0)
	v_mul_f64 v[8:9], v[6:7], v[2:3]
	v_mul_f64 v[2:3], v[4:5], v[2:3]
	v_fma_f64 v[65:66], v[4:5], v[0:1], -v[8:9]
	v_fma_f64 v[67:68], v[6:7], v[0:1], v[2:3]
	global_load_dwordx4 v[0:3], v130, s[24:25]
	ds_read_b128 v[4:7], v40 offset:20480
	s_waitcnt vmcnt(0) lgkmcnt(0)
	v_mul_f64 v[8:9], v[6:7], v[2:3]
	v_mul_f64 v[2:3], v[4:5], v[2:3]
	v_fma_f64 v[61:62], v[4:5], v[0:1], -v[8:9]
	v_fma_f64 v[63:64], v[6:7], v[0:1], v[2:3]
	v_add_co_u32 v0, vcc_lo, 0x6000, v77
	v_add_co_ci_u32_e32 v1, vcc_lo, 0, v78, vcc_lo
	ds_read_b128 v[4:7], v40 offset:25600
	global_load_dwordx4 v[0:3], v[0:1], off offset:1024
	s_waitcnt vmcnt(0) lgkmcnt(0)
	v_mul_f64 v[8:9], v[6:7], v[2:3]
	v_mul_f64 v[2:3], v[4:5], v[2:3]
	v_fma_f64 v[57:58], v[4:5], v[0:1], -v[8:9]
	v_fma_f64 v[59:60], v[6:7], v[0:1], v[2:3]
	v_add_co_u32 v0, vcc_lo, 0x7800, v77
	v_add_co_ci_u32_e32 v1, vcc_lo, 0, v78, vcc_lo
	ds_read_b128 v[4:7], v40 offset:30720
	global_load_dwordx4 v[0:3], v[0:1], off
	s_waitcnt vmcnt(0) lgkmcnt(0)
	v_mul_f64 v[8:9], v[6:7], v[2:3]
	v_mul_f64 v[2:3], v[4:5], v[2:3]
	v_fma_f64 v[53:54], v[4:5], v[0:1], -v[8:9]
	v_fma_f64 v[55:56], v[6:7], v[0:1], v[2:3]
	v_add_co_u32 v0, vcc_lo, 0x8800, v77
	v_add_co_ci_u32_e32 v1, vcc_lo, 0, v78, vcc_lo
	ds_read_b128 v[4:7], v40 offset:35840
	global_load_dwordx4 v[0:3], v[0:1], off offset:1024
	s_waitcnt vmcnt(0) lgkmcnt(0)
	v_mul_f64 v[8:9], v[6:7], v[2:3]
	v_mul_f64 v[2:3], v[4:5], v[2:3]
	v_fma_f64 v[49:50], v[4:5], v[0:1], -v[8:9]
	v_fma_f64 v[51:52], v[6:7], v[0:1], v[2:3]
	global_load_dwordx4 v[0:3], v131, s[24:25]
	ds_read_b128 v[4:7], v40 offset:40960
	s_waitcnt vmcnt(0) lgkmcnt(0)
	v_mul_f64 v[8:9], v[6:7], v[2:3]
	v_mul_f64 v[2:3], v[4:5], v[2:3]
	v_fma_f64 v[45:46], v[4:5], v[0:1], -v[8:9]
	v_fma_f64 v[47:48], v[6:7], v[0:1], v[2:3]
	v_add_co_u32 v0, vcc_lo, 0xb000, v77
	v_add_co_ci_u32_e32 v1, vcc_lo, 0, v78, vcc_lo
	ds_read_b128 v[4:7], v40 offset:46080
	global_load_dwordx4 v[0:3], v[0:1], off offset:1024
	s_waitcnt vmcnt(0) lgkmcnt(0)
	v_mul_f64 v[8:9], v[6:7], v[2:3]
	v_mul_f64 v[2:3], v[4:5], v[2:3]
	v_fma_f64 v[41:42], v[4:5], v[0:1], -v[8:9]
	v_fma_f64 v[43:44], v[6:7], v[0:1], v[2:3]
	v_add_co_u32 v0, vcc_lo, 0x800, v77
	v_add_co_ci_u32_e32 v1, vcc_lo, 0, v78, vcc_lo
	ds_read_b128 v[4:7], v40 offset:2560
	global_load_dwordx4 v[0:3], v[0:1], off offset:512
	;; [unrolled: 9-line block ×10, first 2 shown]
	s_waitcnt vmcnt(0) lgkmcnt(0)
	v_mul_f64 v[8:9], v[6:7], v[2:3]
	v_mul_f64 v[2:3], v[4:5], v[2:3]
	v_fma_f64 v[8:9], v[4:5], v[0:1], -v[8:9]
	v_fma_f64 v[10:11], v[6:7], v[0:1], v[2:3]
	v_add_co_u32 v0, vcc_lo, 0xb800, v77
	v_add_co_ci_u32_e32 v1, vcc_lo, 0, v78, vcc_lo
	global_load_dwordx4 v[4:7], v[0:1], off offset:1536
	ds_read_b128 v[0:3], v40 offset:48640
	s_waitcnt vmcnt(0) lgkmcnt(0)
	v_mul_f64 v[77:78], v[2:3], v[6:7]
	v_mul_f64 v[6:7], v[0:1], v[6:7]
	v_fma_f64 v[0:1], v[0:1], v[4:5], -v[77:78]
	v_fma_f64 v[2:3], v[2:3], v[4:5], v[6:7]
	ds_write_b128 v40, v[84:87]
	ds_write_b128 v40, v[73:76] offset:5120
	ds_write_b128 v40, v[69:72] offset:10240
	;; [unrolled: 1-line block ×19, first 2 shown]
	s_waitcnt lgkmcnt(0)
	s_barrier
	buffer_gl0_inv
	ds_read_b128 v[0:3], v40
	ds_read_b128 v[4:7], v40 offset:10240
	ds_read_b128 v[8:11], v40 offset:20480
	s_waitcnt lgkmcnt(1)
	v_add_f64 v[12:13], v[0:1], v[4:5]
	s_waitcnt lgkmcnt(0)
	v_add_f64 v[22:23], v[4:5], -v[8:9]
	v_add_f64 v[24:25], v[8:9], -v[4:5]
	;; [unrolled: 1-line block ×4, first 2 shown]
	v_add_f64 v[16:17], v[12:13], v[8:9]
	v_add_f64 v[12:13], v[2:3], v[6:7]
	;; [unrolled: 1-line block ×3, first 2 shown]
	ds_read_b128 v[12:15], v40 offset:30720
	s_waitcnt lgkmcnt(0)
	v_add_f64 v[20:21], v[8:9], v[12:13]
	v_add_f64 v[41:42], v[10:11], -v[14:15]
	v_add_f64 v[26:27], v[10:11], v[14:15]
	v_add_f64 v[43:44], v[8:9], -v[12:13]
	ds_read_b128 v[8:11], v40 offset:40960
	s_waitcnt lgkmcnt(0)
	v_add_f64 v[47:48], v[6:7], -v[10:11]
	v_add_f64 v[28:29], v[4:5], v[8:9]
	v_add_f64 v[49:50], v[4:5], -v[8:9]
	v_add_f64 v[30:31], v[6:7], v[10:11]
	v_add_f64 v[4:5], v[16:17], v[12:13]
	;; [unrolled: 1-line block ×3, first 2 shown]
	v_add_f64 v[34:35], v[8:9], -v[12:13]
	v_add_f64 v[51:52], v[12:13], -v[8:9]
	;; [unrolled: 1-line block ×4, first 2 shown]
	v_add_f64 v[38:39], v[4:5], v[8:9]
	v_add_f64 v[55:56], v[6:7], v[10:11]
	ds_read_b128 v[4:7], v40 offset:5120
	ds_read_b128 v[8:11], v40 offset:15360
	;; [unrolled: 1-line block ×3, first 2 shown]
	s_waitcnt lgkmcnt(1)
	v_add_f64 v[16:17], v[4:5], v[8:9]
	s_waitcnt lgkmcnt(0)
	v_add_f64 v[65:66], v[8:9], -v[12:13]
	v_add_f64 v[67:68], v[12:13], -v[8:9]
	;; [unrolled: 1-line block ×4, first 2 shown]
	v_add_f64 v[57:58], v[16:17], v[12:13]
	v_add_f64 v[16:17], v[6:7], v[10:11]
	;; [unrolled: 1-line block ×3, first 2 shown]
	ds_read_b128 v[16:19], v40 offset:35840
	s_waitcnt lgkmcnt(0)
	v_add_f64 v[69:70], v[14:15], v[18:19]
	v_add_f64 v[61:62], v[12:13], v[16:17]
	v_add_f64 v[63:64], v[14:15], -v[18:19]
	v_add_f64 v[71:72], v[12:13], -v[16:17]
	ds_read_b128 v[12:15], v40 offset:46080
	v_fma_f64 v[69:70], v[69:70], -0.5, v[6:7]
	v_fma_f64 v[61:62], v[61:62], -0.5, v[4:5]
	s_waitcnt lgkmcnt(0)
	v_add_f64 v[77:78], v[10:11], -v[14:15]
	v_add_f64 v[79:80], v[8:9], v[12:13]
	v_add_f64 v[84:85], v[8:9], -v[12:13]
	v_add_f64 v[8:9], v[10:11], v[14:15]
	v_add_f64 v[10:11], v[57:58], v[16:17]
	;; [unrolled: 1-line block ×3, first 2 shown]
	v_add_f64 v[59:60], v[12:13], -v[16:17]
	v_add_f64 v[86:87], v[14:15], -v[18:19]
	;; [unrolled: 1-line block ×4, first 2 shown]
	v_fma_f64 v[4:5], v[79:80], -0.5, v[4:5]
	v_fma_f64 v[6:7], v[8:9], -0.5, v[6:7]
	v_add_f64 v[10:11], v[10:11], v[12:13]
	v_fma_f64 v[8:9], v[84:85], s[14:15], v[69:70]
	v_add_f64 v[12:13], v[57:58], v[14:15]
	v_fma_f64 v[14:15], v[20:21], -0.5, v[0:1]
	v_fma_f64 v[0:1], v[28:29], -0.5, v[0:1]
	v_add_f64 v[59:60], v[65:66], v[59:60]
	v_add_f64 v[65:66], v[73:74], v[86:87]
	v_fma_f64 v[57:58], v[26:27], -0.5, v[2:3]
	v_fma_f64 v[2:3], v[30:31], -0.5, v[2:3]
	v_add_f64 v[18:19], v[75:76], v[18:19]
	v_add_f64 v[16:17], v[67:68], v[16:17]
	;; [unrolled: 1-line block ×3, first 2 shown]
	v_add_f64 v[80:81], v[38:39], -v[10:11]
	v_fma_f64 v[8:9], v[71:72], s[6:7], v[8:9]
	v_fma_f64 v[10:11], v[77:78], s[16:17], v[61:62]
	v_add_f64 v[30:31], v[55:56], v[12:13]
	v_add_f64 v[82:83], v[55:56], -v[12:13]
	v_add_f64 v[12:13], v[22:23], v[34:35]
	v_fma_f64 v[22:23], v[49:50], s[14:15], v[57:58]
	v_add_f64 v[55:56], v[32:33], v[36:37]
	v_fma_f64 v[8:9], v[65:66], s[8:9], v[8:9]
	v_fma_f64 v[10:11], v[63:64], s[12:13], v[10:11]
	;; [unrolled: 1-line block ×3, first 2 shown]
	v_mul_f64 v[20:21], v[8:9], s[12:13]
	v_fma_f64 v[10:11], v[59:60], s[8:9], v[10:11]
	v_fma_f64 v[22:23], v[55:56], s[8:9], v[22:23]
	;; [unrolled: 1-line block ×3, first 2 shown]
	v_mul_f64 v[10:11], v[10:11], s[6:7]
	v_fma_f64 v[8:9], v[8:9], s[22:23], v[10:11]
	v_fma_f64 v[10:11], v[47:48], s[16:17], v[14:15]
	v_add_f64 v[34:35], v[22:23], v[8:9]
	v_fma_f64 v[10:11], v[41:42], s[12:13], v[10:11]
	v_add_f64 v[38:39], v[22:23], -v[8:9]
	v_fma_f64 v[22:23], v[63:64], s[14:15], v[4:5]
	v_add_f64 v[8:9], v[24:25], v[51:52]
	v_fma_f64 v[4:5], v[63:64], s[16:17], v[4:5]
	v_fma_f64 v[10:11], v[12:13], s[8:9], v[10:11]
	;; [unrolled: 1-line block ×4, first 2 shown]
	v_add_f64 v[32:33], v[10:11], v[20:21]
	v_add_f64 v[36:37], v[10:11], -v[20:21]
	v_fma_f64 v[20:21], v[71:72], s[16:17], v[6:7]
	v_fma_f64 v[22:23], v[16:17], s[8:9], v[22:23]
	;; [unrolled: 1-line block ×3, first 2 shown]
	v_add_f64 v[10:11], v[45:46], v[53:54]
	v_fma_f64 v[4:5], v[16:17], s[8:9], v[4:5]
	v_fma_f64 v[20:21], v[84:85], s[6:7], v[20:21]
	;; [unrolled: 1-line block ×5, first 2 shown]
	v_mul_f64 v[24:25], v[20:21], s[16:17]
	v_mul_f64 v[20:21], v[20:21], s[8:9]
	v_fma_f64 v[24:25], v[22:23], s[8:9], v[24:25]
	v_fma_f64 v[26:27], v[22:23], s[14:15], v[20:21]
	;; [unrolled: 1-line block ×12, first 2 shown]
	v_mul_f64 v[8:9], v[6:7], s[16:17]
	v_mul_f64 v[6:7], v[6:7], s[18:19]
	v_fma_f64 v[2:3], v[10:11], s[8:9], v[2:3]
	v_fma_f64 v[51:52], v[10:11], s[8:9], v[22:23]
	v_add_f64 v[20:21], v[45:46], v[24:25]
	v_add_f64 v[24:25], v[45:46], -v[24:25]
	v_fma_f64 v[16:17], v[4:5], s[18:19], v[8:9]
	v_fma_f64 v[4:5], v[4:5], s[14:15], v[6:7]
	v_fma_f64 v[6:7], v[77:78], s[14:15], v[61:62]
	v_add_f64 v[22:23], v[51:52], v[26:27]
	v_add_f64 v[26:27], v[51:52], -v[26:27]
	v_add_f64 v[8:9], v[0:1], v[16:17]
	v_add_f64 v[16:17], v[0:1], -v[16:17]
	v_fma_f64 v[0:1], v[84:85], s[16:17], v[69:70]
	v_add_f64 v[10:11], v[2:3], v[4:5]
	v_add_f64 v[18:19], v[2:3], -v[4:5]
	v_fma_f64 v[4:5], v[49:50], s[16:17], v[57:58]
	v_fma_f64 v[2:3], v[47:48], s[14:15], v[14:15]
	;; [unrolled: 1-line block ×10, first 2 shown]
	v_mul_f64 v[6:7], v[0:1], s[12:13]
	v_mul_f64 v[0:1], v[0:1], s[20:21]
	v_fma_f64 v[12:13], v[4:5], s[20:21], v[6:7]
	v_fma_f64 v[0:1], v[4:5], s[6:7], v[0:1]
	v_add_f64 v[4:5], v[2:3], v[12:13]
	v_add_f64 v[6:7], v[14:15], v[0:1]
	v_add_f64 v[12:13], v[2:3], -v[12:13]
	v_add_f64 v[14:15], v[14:15], -v[0:1]
	ds_read_b128 v[0:3], v40 offset:2560
	ds_read_b128 v[44:47], v40 offset:7680
	;; [unrolled: 1-line block ×10, first 2 shown]
	s_waitcnt lgkmcnt(0)
	s_barrier
	buffer_gl0_inv
	ds_write_b128 v129, v[28:31]
	ds_write_b128 v129, v[80:83] offset:80
	ds_write_b128 v129, v[32:35] offset:16
	;; [unrolled: 1-line block ×9, first 2 shown]
	v_add_f64 v[4:5], v[0:1], v[72:73]
	v_add_f64 v[6:7], v[2:3], v[74:75]
	;; [unrolled: 1-line block ×3, first 2 shown]
	v_add_f64 v[34:35], v[76:77], -v[64:65]
	v_add_f64 v[24:25], v[68:69], -v[64:65]
	;; [unrolled: 1-line block ×3, first 2 shown]
	v_add_f64 v[41:42], v[44:45], v[52:53]
	v_add_f64 v[14:15], v[74:75], -v[78:79]
	v_add_f64 v[18:19], v[78:79], -v[74:75]
	;; [unrolled: 1-line block ×3, first 2 shown]
	v_add_f64 v[22:23], v[74:75], v[70:71]
	v_add_f64 v[74:75], v[62:63], v[50:51]
	v_add_f64 v[32:33], v[78:79], -v[66:67]
	v_add_f64 v[10:11], v[72:73], -v[76:77]
	v_add_f64 v[16:17], v[76:77], -v[72:73]
	v_add_f64 v[12:13], v[78:79], v[66:67]
	v_add_f64 v[20:21], v[72:73], v[68:69]
	v_add_f64 v[38:39], v[72:73], -v[68:69]
	v_add_f64 v[28:29], v[70:71], -v[66:67]
	;; [unrolled: 1-line block ×4, first 2 shown]
	v_add_f64 v[80:81], v[52:53], v[56:57]
	v_add_f64 v[4:5], v[4:5], v[76:77]
	;; [unrolled: 1-line block ×3, first 2 shown]
	v_add_f64 v[76:77], v[54:55], -v[62:63]
	v_add_f64 v[78:79], v[54:55], -v[58:59]
	;; [unrolled: 1-line block ×4, first 2 shown]
	v_add_f64 v[41:42], v[41:42], v[60:61]
	v_fma_f64 v[129:130], v[22:23], -0.5, v[2:3]
	v_fma_f64 v[74:75], v[74:75], -0.5, v[46:47]
	;; [unrolled: 1-line block ×3, first 2 shown]
	v_add_f64 v[4:5], v[4:5], v[64:65]
	v_add_f64 v[64:65], v[46:47], v[54:55]
	;; [unrolled: 1-line block ×8, first 2 shown]
	v_add_f64 v[70:71], v[52:53], -v[60:61]
	v_add_f64 v[52:53], v[52:53], -v[56:57]
	;; [unrolled: 1-line block ×5, first 2 shown]
	v_add_f64 v[54:55], v[54:55], v[58:59]
	v_add_f64 v[48:49], v[48:49], -v[56:57]
	v_add_f64 v[41:42], v[41:42], v[56:57]
	v_fma_f64 v[66:67], v[66:67], -0.5, v[44:45]
	v_fma_f64 v[43:44], v[80:81], -0.5, v[44:45]
	v_add_f64 v[64:65], v[64:65], v[50:51]
	v_add_f64 v[50:51], v[50:51], -v[58:59]
	v_fma_f64 v[45:46], v[54:55], -0.5, v[46:47]
	v_add_f64 v[54:55], v[14:15], v[28:29]
	v_add_f64 v[28:29], v[72:73], v[48:49]
	;; [unrolled: 1-line block ×3, first 2 shown]
	v_fma_f64 v[58:59], v[8:9], -0.5, v[0:1]
	v_fma_f64 v[8:9], v[52:53], s[14:15], v[74:75]
	v_fma_f64 v[64:65], v[20:21], -0.5, v[0:1]
	v_add_f64 v[0:1], v[4:5], v[41:42]
	v_add_f64 v[4:5], v[4:5], -v[41:42]
	v_add_f64 v[41:42], v[10:11], v[24:25]
	v_fma_f64 v[10:11], v[78:79], s[16:17], v[66:67]
	v_add_f64 v[24:25], v[16:17], v[26:27]
	v_fma_f64 v[16:17], v[60:61], s[16:17], v[45:46]
	v_add_f64 v[26:27], v[18:19], v[30:31]
	v_add_f64 v[30:31], v[62:63], v[50:51]
	v_fma_f64 v[18:19], v[68:69], s[14:15], v[43:44]
	v_add_f64 v[2:3], v[6:7], v[56:57]
	v_add_f64 v[6:7], v[6:7], -v[56:57]
	v_add_f64 v[56:57], v[70:71], v[82:83]
	v_add_f64 v[70:71], v[76:77], v[84:85]
	v_fma_f64 v[8:9], v[60:61], s[6:7], v[8:9]
	v_fma_f64 v[10:11], v[68:69], s[12:13], v[10:11]
	;; [unrolled: 1-line block ×8, first 2 shown]
	v_mul_f64 v[12:13], v[8:9], s[12:13]
	v_fma_f64 v[12:13], v[10:11], s[22:23], v[12:13]
	v_mul_f64 v[10:11], v[10:11], s[6:7]
	v_fma_f64 v[14:15], v[8:9], s[22:23], v[10:11]
	v_fma_f64 v[8:9], v[36:37], s[16:17], v[58:59]
	;; [unrolled: 1-line block ×7, first 2 shown]
	v_add_f64 v[8:9], v[20:21], v[12:13]
	v_add_f64 v[12:13], v[20:21], -v[12:13]
	v_mul_f64 v[20:21], v[16:17], s[16:17]
	v_mul_f64 v[16:17], v[16:17], s[8:9]
	v_add_f64 v[10:11], v[22:23], v[14:15]
	v_add_f64 v[14:15], v[22:23], -v[14:15]
	v_fma_f64 v[20:21], v[18:19], s[8:9], v[20:21]
	v_fma_f64 v[22:23], v[18:19], s[14:15], v[16:17]
	;; [unrolled: 1-line block ×8, first 2 shown]
	v_add_f64 v[16:17], v[47:48], v[20:21]
	v_add_f64 v[20:21], v[47:48], -v[20:21]
	v_fma_f64 v[47:48], v[32:33], s[16:17], v[64:65]
	v_add_f64 v[18:19], v[49:50], v[22:23]
	v_add_f64 v[22:23], v[49:50], -v[22:23]
	v_fma_f64 v[47:48], v[36:37], s[6:7], v[47:48]
	v_fma_f64 v[36:37], v[36:37], s[14:15], v[58:59]
	;; [unrolled: 1-line block ×23, first 2 shown]
	v_mul_f64 v[28:29], v[24:25], s[16:17]
	v_mul_f64 v[24:25], v[24:25], s[18:19]
	;; [unrolled: 1-line block ×4, first 2 shown]
	v_fma_f64 v[28:29], v[26:27], s[18:19], v[28:29]
	v_fma_f64 v[30:31], v[26:27], s[14:15], v[24:25]
	;; [unrolled: 1-line block ×4, first 2 shown]
	v_add_f64 v[24:25], v[47:48], v[28:29]
	v_add_f64 v[26:27], v[49:50], v[30:31]
	;; [unrolled: 1-line block ×4, first 2 shown]
	v_add_f64 v[28:29], v[47:48], -v[28:29]
	v_add_f64 v[30:31], v[49:50], -v[30:31]
	;; [unrolled: 1-line block ×4, first 2 shown]
	ds_write_b128 v96, v[0:3]
	ds_write_b128 v96, v[8:11] offset:16
	ds_write_b128 v96, v[16:19] offset:32
	;; [unrolled: 1-line block ×9, first 2 shown]
	s_waitcnt lgkmcnt(0)
	s_barrier
	buffer_gl0_inv
	ds_read_b128 v[0:3], v40 offset:5120
	s_clause 0x3
	buffer_load_dword v6, off, s[28:31], 0 offset:376
	buffer_load_dword v7, off, s[28:31], 0 offset:380
	;; [unrolled: 1-line block ×4, first 2 shown]
	s_waitcnt vmcnt(0) lgkmcnt(0)
	v_mul_f64 v[4:5], v[8:9], v[2:3]
	v_fma_f64 v[41:42], v[6:7], v[0:1], v[4:5]
	v_mul_f64 v[0:1], v[8:9], v[0:1]
	v_fma_f64 v[43:44], v[6:7], v[2:3], -v[0:1]
	ds_read_b128 v[0:3], v40 offset:10240
	s_clause 0x3
	buffer_load_dword v6, off, s[28:31], 0 offset:392
	buffer_load_dword v7, off, s[28:31], 0 offset:396
	buffer_load_dword v8, off, s[28:31], 0 offset:400
	buffer_load_dword v9, off, s[28:31], 0 offset:404
	s_waitcnt vmcnt(0) lgkmcnt(0)
	v_mul_f64 v[4:5], v[8:9], v[2:3]
	v_fma_f64 v[45:46], v[6:7], v[0:1], v[4:5]
	v_mul_f64 v[0:1], v[8:9], v[0:1]
	v_fma_f64 v[47:48], v[6:7], v[2:3], -v[0:1]
	ds_read_b128 v[0:3], v40 offset:15360
	s_clause 0x3
	buffer_load_dword v6, off, s[28:31], 0 offset:408
	buffer_load_dword v7, off, s[28:31], 0 offset:412
	;; [unrolled: 1-line block ×4, first 2 shown]
	s_waitcnt vmcnt(0) lgkmcnt(0)
	v_mul_f64 v[4:5], v[8:9], v[2:3]
	v_fma_f64 v[49:50], v[6:7], v[0:1], v[4:5]
	v_mul_f64 v[0:1], v[8:9], v[0:1]
	v_add_f64 v[85:86], v[41:42], v[49:50]
	v_fma_f64 v[51:52], v[6:7], v[2:3], -v[0:1]
	ds_read_b128 v[0:3], v40 offset:20480
	s_clause 0x3
	buffer_load_dword v6, off, s[28:31], 0 offset:424
	buffer_load_dword v7, off, s[28:31], 0 offset:428
	buffer_load_dword v8, off, s[28:31], 0 offset:432
	buffer_load_dword v9, off, s[28:31], 0 offset:436
	s_waitcnt vmcnt(0) lgkmcnt(0)
	v_mul_f64 v[4:5], v[8:9], v[2:3]
	v_fma_f64 v[53:54], v[6:7], v[0:1], v[4:5]
	v_mul_f64 v[0:1], v[8:9], v[0:1]
	v_fma_f64 v[55:56], v[6:7], v[2:3], -v[0:1]
	ds_read_b128 v[0:3], v40 offset:25600
	s_clause 0x3
	buffer_load_dword v6, off, s[28:31], 0 offset:440
	buffer_load_dword v7, off, s[28:31], 0 offset:444
	;; [unrolled: 1-line block ×4, first 2 shown]
	s_waitcnt vmcnt(0) lgkmcnt(0)
	v_mul_f64 v[4:5], v[8:9], v[2:3]
	v_fma_f64 v[57:58], v[6:7], v[0:1], v[4:5]
	v_mul_f64 v[0:1], v[8:9], v[0:1]
	v_add_f64 v[85:86], v[85:86], v[57:58]
	v_fma_f64 v[59:60], v[6:7], v[2:3], -v[0:1]
	ds_read_b128 v[0:3], v40 offset:30720
	s_clause 0x3
	buffer_load_dword v6, off, s[28:31], 0 offset:456
	buffer_load_dword v7, off, s[28:31], 0 offset:460
	;; [unrolled: 1-line block ×4, first 2 shown]
	s_waitcnt vmcnt(0) lgkmcnt(0)
	v_mul_f64 v[4:5], v[8:9], v[2:3]
	v_fma_f64 v[61:62], v[6:7], v[0:1], v[4:5]
	v_mul_f64 v[0:1], v[8:9], v[0:1]
	v_add_f64 v[77:78], v[53:54], v[61:62]
	v_fma_f64 v[63:64], v[6:7], v[2:3], -v[0:1]
	ds_read_b128 v[0:3], v40 offset:35840
	s_clause 0x3
	buffer_load_dword v6, off, s[28:31], 0 offset:472
	buffer_load_dword v7, off, s[28:31], 0 offset:476
	;; [unrolled: 1-line block ×4, first 2 shown]
	v_add_f64 v[130:131], v[53:54], -v[61:62]
	v_add_f64 v[81:82], v[55:56], v[63:64]
	s_waitcnt vmcnt(0) lgkmcnt(0)
	v_mul_f64 v[4:5], v[8:9], v[2:3]
	v_fma_f64 v[65:66], v[6:7], v[0:1], v[4:5]
	v_mul_f64 v[0:1], v[8:9], v[0:1]
	v_add_f64 v[85:86], v[85:86], v[65:66]
	v_fma_f64 v[67:68], v[6:7], v[2:3], -v[0:1]
	ds_read_b128 v[0:3], v40 offset:40960
	s_clause 0x3
	buffer_load_dword v6, off, s[28:31], 0 offset:488
	buffer_load_dword v7, off, s[28:31], 0 offset:492
	;; [unrolled: 1-line block ×4, first 2 shown]
	s_waitcnt vmcnt(0) lgkmcnt(0)
	v_mul_f64 v[4:5], v[8:9], v[2:3]
	v_fma_f64 v[69:70], v[6:7], v[0:1], v[4:5]
	v_mul_f64 v[0:1], v[8:9], v[0:1]
	v_add_f64 v[79:80], v[45:46], v[69:70]
	v_fma_f64 v[71:72], v[6:7], v[2:3], -v[0:1]
	ds_read_b128 v[0:3], v40 offset:46080
	s_clause 0x3
	buffer_load_dword v6, off, s[28:31], 0 offset:504
	buffer_load_dword v7, off, s[28:31], 0 offset:508
	;; [unrolled: 1-line block ×4, first 2 shown]
	v_add_f64 v[83:84], v[47:48], v[71:72]
	s_waitcnt vmcnt(0) lgkmcnt(0)
	v_mul_f64 v[4:5], v[8:9], v[2:3]
	v_fma_f64 v[73:74], v[6:7], v[0:1], v[4:5]
	v_mul_f64 v[0:1], v[8:9], v[0:1]
	v_add_f64 v[85:86], v[85:86], v[73:74]
	v_fma_f64 v[75:76], v[6:7], v[2:3], -v[0:1]
	ds_read_b128 v[0:3], v40 offset:7680
	s_waitcnt lgkmcnt(0)
	v_mul_f64 v[4:5], v[134:135], v[2:3]
	v_fma_f64 v[176:177], v[132:133], v[0:1], v[4:5]
	v_mul_f64 v[0:1], v[134:135], v[0:1]
	v_add_f64 v[134:135], v[49:50], -v[73:74]
	v_fma_f64 v[6:7], v[132:133], v[2:3], -v[0:1]
	ds_read_b128 v[0:3], v40 offset:12800
	s_waitcnt lgkmcnt(0)
	v_mul_f64 v[8:9], v[127:128], v[2:3]
	v_fma_f64 v[10:11], v[125:126], v[0:1], v[8:9]
	v_mul_f64 v[0:1], v[127:128], v[0:1]
	v_add_f64 v[128:129], v[45:46], -v[69:70]
	v_fma_f64 v[12:13], v[125:126], v[2:3], -v[0:1]
	ds_read_b128 v[0:3], v40 offset:17920
	s_waitcnt lgkmcnt(0)
	v_mul_f64 v[8:9], v[123:124], v[2:3]
	v_fma_f64 v[14:15], v[121:122], v[0:1], v[8:9]
	v_mul_f64 v[0:1], v[123:124], v[0:1]
	v_fma_f64 v[8:9], v[121:122], v[2:3], -v[0:1]
	ds_read_b128 v[0:3], v40 offset:23040
	v_add_f64 v[122:123], v[55:56], -v[63:64]
	s_waitcnt lgkmcnt(0)
	v_mul_f64 v[16:17], v[119:120], v[2:3]
	v_fma_f64 v[16:17], v[117:118], v[0:1], v[16:17]
	v_mul_f64 v[0:1], v[119:120], v[0:1]
	v_add_f64 v[120:121], v[47:48], -v[71:72]
	v_fma_f64 v[18:19], v[117:118], v[2:3], -v[0:1]
	ds_read_b128 v[0:3], v40 offset:28160
	s_waitcnt lgkmcnt(0)
	v_mul_f64 v[20:21], v[115:116], v[2:3]
	v_fma_f64 v[22:23], v[113:114], v[0:1], v[20:21]
	v_mul_f64 v[0:1], v[115:116], v[0:1]
	v_add_f64 v[116:117], v[59:60], -v[67:68]
	v_fma_f64 v[20:21], v[113:114], v[2:3], -v[0:1]
	ds_read_b128 v[0:3], v40 offset:33280
	v_add_f64 v[114:115], v[51:52], -v[75:76]
	s_waitcnt lgkmcnt(0)
	v_mul_f64 v[24:25], v[111:112], v[2:3]
	v_fma_f64 v[26:27], v[109:110], v[0:1], v[24:25]
	v_mul_f64 v[0:1], v[111:112], v[0:1]
	v_add_f64 v[112:113], v[57:58], -v[65:66]
	v_fma_f64 v[28:29], v[109:110], v[2:3], -v[0:1]
	ds_read_b128 v[0:3], v40 offset:38400
	s_waitcnt lgkmcnt(0)
	v_mul_f64 v[24:25], v[107:108], v[2:3]
	v_fma_f64 v[30:31], v[105:106], v[0:1], v[24:25]
	v_mul_f64 v[0:1], v[107:108], v[0:1]
	v_fma_f64 v[24:25], v[105:106], v[2:3], -v[0:1]
	ds_read_b128 v[0:3], v40 offset:43520
	v_add_f64 v[106:107], v[75:76], -v[67:68]
	s_waitcnt lgkmcnt(0)
	v_mul_f64 v[32:33], v[103:104], v[2:3]
	v_fma_f64 v[34:35], v[101:102], v[0:1], v[32:33]
	v_mul_f64 v[0:1], v[103:104], v[0:1]
	v_add_f64 v[104:105], v[73:74], -v[65:66]
	v_fma_f64 v[36:37], v[101:102], v[2:3], -v[0:1]
	ds_read_b128 v[0:3], v40 offset:48640
	s_waitcnt lgkmcnt(0)
	v_mul_f64 v[32:33], v[99:100], v[2:3]
	v_fma_f64 v[38:39], v[97:98], v[0:1], v[32:33]
	v_mul_f64 v[0:1], v[99:100], v[0:1]
	v_fma_f64 v[32:33], v[97:98], v[2:3], -v[0:1]
	ds_read_b128 v[0:3], v40
	v_add_f64 v[96:97], v[43:44], v[51:52]
	s_waitcnt lgkmcnt(0)
	v_fma_f64 v[77:78], v[77:78], -0.5, v[0:1]
	v_fma_f64 v[79:80], v[79:80], -0.5, v[0:1]
	;; [unrolled: 1-line block ×4, first 2 shown]
	v_add_f64 v[0:1], v[0:1], v[45:46]
	v_add_f64 v[2:3], v[2:3], v[47:48]
	;; [unrolled: 1-line block ×13, first 2 shown]
	v_add_f64 v[96:97], v[0:1], -v[85:86]
	v_add_f64 v[98:99], v[2:3], -v[98:99]
	v_add_f64 v[0:1], v[45:46], -v[53:54]
	v_add_f64 v[2:3], v[69:70], -v[61:62]
	v_add_f64 v[85:86], v[71:72], -v[63:64]
	v_add_f64 v[4:5], v[0:1], v[2:3]
	v_add_f64 v[2:3], v[47:48], -v[55:56]
	v_add_f64 v[47:48], v[55:56], -v[47:48]
	;; [unrolled: 1-line block ×3, first 2 shown]
	v_add_f64 v[2:3], v[2:3], v[85:86]
	v_add_f64 v[85:86], v[49:50], -v[57:58]
	v_add_f64 v[49:50], v[49:50], v[73:74]
	v_add_f64 v[85:86], v[85:86], v[104:105]
	v_add_f64 v[104:105], v[51:52], -v[59:60]
	v_fma_f64 v[49:50], v[49:50], -0.5, v[41:42]
	v_add_f64 v[124:125], v[104:105], v[106:107]
	v_add_f64 v[104:105], v[57:58], v[65:66]
	v_add_f64 v[57:58], v[65:66], -v[73:74]
	v_add_f64 v[73:74], v[14:15], -v[38:39]
	v_fma_f64 v[126:127], v[104:105], -0.5, v[41:42]
	v_add_f64 v[104:105], v[59:60], v[67:68]
	v_add_f64 v[59:60], v[59:60], -v[51:52]
	v_add_f64 v[51:52], v[51:52], v[75:76]
	v_add_f64 v[55:56], v[55:56], v[57:58]
	v_fma_f64 v[106:107], v[114:115], s[16:17], v[126:127]
	v_fma_f64 v[132:133], v[104:105], -0.5, v[43:44]
	v_fma_f64 v[51:52], v[51:52], -0.5, v[43:44]
	v_fma_f64 v[43:44], v[116:117], s[14:15], v[49:50]
	v_fma_f64 v[49:50], v[116:117], s[16:17], v[49:50]
	;; [unrolled: 1-line block ×15, first 2 shown]
	v_mul_f64 v[108:109], v[104:105], s[12:13]
	v_mul_f64 v[104:105], v[104:105], s[22:23]
	v_fma_f64 v[118:119], v[106:107], s[22:23], v[108:109]
	v_fma_f64 v[108:109], v[128:129], s[14:15], v[81:82]
	;; [unrolled: 1-line block ×8, first 2 shown]
	v_add_f64 v[110:111], v[0:1], v[106:107]
	v_add_f64 v[106:107], v[0:1], -v[106:107]
	v_add_f64 v[0:1], v[53:54], -v[45:46]
	;; [unrolled: 1-line block ×5, first 2 shown]
	v_add_f64 v[108:109], v[104:105], v[118:119]
	v_add_f64 v[104:105], v[104:105], -v[118:119]
	v_add_f64 v[75:76], v[22:23], -v[30:31]
	v_add_f64 v[0:1], v[0:1], v[45:46]
	v_add_f64 v[57:58], v[59:60], v[61:62]
	;; [unrolled: 1-line block ×3, first 2 shown]
	v_fma_f64 v[41:42], v[57:58], s[8:9], v[41:42]
	v_fma_f64 v[51:52], v[57:58], s[8:9], v[51:52]
	v_mul_f64 v[45:46], v[41:42], s[16:17]
	v_mul_f64 v[41:42], v[41:42], s[8:9]
	v_fma_f64 v[59:60], v[43:44], s[8:9], v[45:46]
	v_fma_f64 v[43:44], v[43:44], s[14:15], v[41:42]
	;; [unrolled: 1-line block ×8, first 2 shown]
	v_add_f64 v[45:46], v[41:42], v[59:60]
	v_add_f64 v[41:42], v[41:42], -v[59:60]
	v_fma_f64 v[59:60], v[122:123], s[16:17], v[79:80]
	v_add_f64 v[47:48], v[61:62], v[43:44]
	v_add_f64 v[43:44], v[61:62], -v[43:44]
	v_fma_f64 v[61:62], v[114:115], s[14:15], v[126:127]
	v_add_f64 v[79:80], v[20:21], -v[24:25]
	v_fma_f64 v[59:60], v[120:121], s[6:7], v[59:60]
	v_fma_f64 v[61:62], v[116:117], s[6:7], v[61:62]
	v_fma_f64 v[0:1], v[0:1], s[8:9], v[59:60]
	v_fma_f64 v[59:60], v[130:131], s[14:15], v[83:84]
	v_add_f64 v[83:84], v[18:19], -v[28:29]
	v_fma_f64 v[59:60], v[128:129], s[12:13], v[59:60]
	v_fma_f64 v[59:60], v[53:54], s[8:9], v[59:60]
	v_mul_f64 v[53:54], v[51:52], s[16:17]
	v_mul_f64 v[51:52], v[51:52], s[18:19]
	v_fma_f64 v[57:58], v[49:50], s[18:19], v[53:54]
	v_fma_f64 v[51:52], v[49:50], s[14:15], v[51:52]
	v_add_f64 v[53:54], v[0:1], v[57:58]
	v_add_f64 v[49:50], v[0:1], -v[57:58]
	v_fma_f64 v[0:1], v[134:135], s[16:17], v[132:133]
	v_add_f64 v[55:56], v[59:60], v[51:52]
	v_add_f64 v[51:52], v[59:60], -v[51:52]
	v_fma_f64 v[57:58], v[120:121], s[14:15], v[77:78]
	v_fma_f64 v[59:60], v[128:129], s[16:17], v[81:82]
	v_add_f64 v[77:78], v[8:9], -v[32:33]
	v_add_f64 v[81:82], v[12:13], -v[36:37]
	v_fma_f64 v[0:1], v[112:113], s[12:13], v[0:1]
	v_fma_f64 v[57:58], v[122:123], s[6:7], v[57:58]
	;; [unrolled: 1-line block ×7, first 2 shown]
	v_add_f64 v[85:86], v[10:11], -v[34:35]
	v_mul_f64 v[59:60], v[0:1], s[12:13]
	v_mul_f64 v[0:1], v[0:1], s[20:21]
	v_fma_f64 v[59:60], v[57:58], s[20:21], v[59:60]
	v_fma_f64 v[0:1], v[57:58], s[6:7], v[0:1]
	v_add_f64 v[132:133], v[4:5], v[59:60]
	v_add_f64 v[124:125], v[4:5], -v[59:60]
	v_add_f64 v[4:5], v[16:17], v[26:27]
	v_add_f64 v[134:135], v[2:3], v[0:1]
	v_add_f64 v[126:127], v[2:3], -v[0:1]
	ds_read_b128 v[0:3], v40 offset:2560
	s_waitcnt lgkmcnt(0)
	s_barrier
	buffer_gl0_inv
	ds_write_b128 v185, v[100:103]
	ds_write_b128 v185, v[96:99] offset:800
	ds_write_b128 v185, v[108:111] offset:160
	;; [unrolled: 1-line block ×9, first 2 shown]
	v_add_f64 v[41:42], v[6:7], v[8:9]
	v_add_f64 v[96:97], v[16:17], -v[26:27]
	v_fma_f64 v[53:54], v[4:5], -0.5, v[0:1]
	v_add_f64 v[4:5], v[10:11], v[34:35]
	v_add_f64 v[41:42], v[41:42], v[20:21]
	v_fma_f64 v[55:56], v[4:5], -0.5, v[0:1]
	v_add_f64 v[4:5], v[18:19], v[28:29]
	v_add_f64 v[0:1], v[0:1], v[10:11]
	v_add_f64 v[41:42], v[41:42], v[24:25]
	v_fma_f64 v[57:58], v[4:5], -0.5, v[2:3]
	v_add_f64 v[4:5], v[12:13], v[36:37]
	;; [unrolled: 4-line block ×3, first 2 shown]
	v_add_f64 v[4:5], v[176:177], v[14:15]
	v_add_f64 v[0:1], v[0:1], v[26:27]
	v_add_f64 v[2:3], v[2:3], v[18:19]
	v_add_f64 v[4:5], v[4:5], v[22:23]
	v_add_f64 v[43:44], v[0:1], v[34:35]
	v_add_f64 v[2:3], v[2:3], v[28:29]
	v_add_f64 v[4:5], v[4:5], v[30:31]
	v_add_f64 v[45:46], v[2:3], v[36:37]
	v_add_f64 v[4:5], v[4:5], v[38:39]
	v_add_f64 v[2:3], v[45:46], v[47:48]
	v_add_f64 v[0:1], v[43:44], v[4:5]
	v_add_f64 v[41:42], v[43:44], -v[4:5]
	v_add_f64 v[43:44], v[45:46], -v[47:48]
	;; [unrolled: 1-line block ×4, first 2 shown]
	v_add_f64 v[61:62], v[4:5], v[45:46]
	v_add_f64 v[4:5], v[12:13], -v[18:19]
	v_add_f64 v[45:46], v[36:37], -v[28:29]
	;; [unrolled: 1-line block ×4, first 2 shown]
	v_add_f64 v[63:64], v[4:5], v[45:46]
	v_add_f64 v[4:5], v[14:15], -v[22:23]
	v_add_f64 v[45:46], v[38:39], -v[30:31]
	v_add_f64 v[14:15], v[14:15], v[38:39]
	v_add_f64 v[65:66], v[4:5], v[45:46]
	v_add_f64 v[4:5], v[8:9], -v[20:21]
	v_add_f64 v[45:46], v[32:33], -v[24:25]
	v_fma_f64 v[14:15], v[14:15], -0.5, v[176:177]
	v_add_f64 v[67:68], v[4:5], v[45:46]
	v_add_f64 v[4:5], v[22:23], v[30:31]
	v_add_f64 v[22:23], v[30:31], -v[38:39]
	v_fma_f64 v[69:70], v[4:5], -0.5, v[176:177]
	v_add_f64 v[4:5], v[20:21], v[24:25]
	v_add_f64 v[20:21], v[20:21], -v[8:9]
	v_add_f64 v[8:9], v[8:9], v[32:33]
	v_add_f64 v[24:25], v[24:25], -v[32:33]
	v_fma_f64 v[45:46], v[77:78], s[16:17], v[69:70]
	v_fma_f64 v[71:72], v[4:5], -0.5, v[6:7]
	v_fma_f64 v[45:46], v[79:80], s[12:13], v[45:46]
	v_fma_f64 v[4:5], v[73:74], s[14:15], v[71:72]
	;; [unrolled: 1-line block ×5, first 2 shown]
	v_mul_f64 v[47:48], v[4:5], s[12:13]
	v_mul_f64 v[4:5], v[4:5], s[22:23]
	v_fma_f64 v[49:50], v[45:46], s[22:23], v[47:48]
	v_fma_f64 v[4:5], v[45:46], s[6:7], v[4:5]
	;; [unrolled: 1-line block ×8, first 2 shown]
	v_add_f64 v[45:46], v[51:52], v[49:50]
	v_add_f64 v[47:48], v[98:99], v[4:5]
	v_add_f64 v[49:50], v[51:52], -v[49:50]
	v_add_f64 v[51:52], v[98:99], -v[4:5]
	v_add_f64 v[4:5], v[16:17], -v[10:11]
	v_add_f64 v[10:11], v[26:27], -v[34:35]
	v_fma_f64 v[26:27], v[8:9], -0.5, v[6:7]
	v_add_f64 v[16:17], v[28:29], -v[36:37]
	v_fma_f64 v[6:7], v[79:80], s[14:15], v[14:15]
	v_fma_f64 v[14:15], v[79:80], s[16:17], v[14:15]
	v_add_f64 v[28:29], v[4:5], v[10:11]
	v_fma_f64 v[4:5], v[75:76], s[16:17], v[26:27]
	v_add_f64 v[12:13], v[12:13], v[16:17]
	v_add_f64 v[16:17], v[18:19], v[22:23]
	;; [unrolled: 1-line block ×3, first 2 shown]
	v_fma_f64 v[6:7], v[77:78], s[12:13], v[6:7]
	v_fma_f64 v[14:15], v[77:78], s[6:7], v[14:15]
	;; [unrolled: 1-line block ×9, first 2 shown]
	v_mul_f64 v[8:9], v[4:5], s[16:17]
	v_mul_f64 v[4:5], v[4:5], s[8:9]
	v_fma_f64 v[8:9], v[6:7], s[8:9], v[8:9]
	v_fma_f64 v[10:11], v[6:7], s[14:15], v[4:5]
	v_fma_f64 v[6:7], v[96:97], s[16:17], v[59:60]
	v_fma_f64 v[4:5], v[83:84], s[14:15], v[55:56]
	v_fma_f64 v[6:7], v[85:86], s[6:7], v[6:7]
	v_fma_f64 v[4:5], v[81:82], s[12:13], v[4:5]
	v_fma_f64 v[22:23], v[12:13], s[8:9], v[6:7]
	v_fma_f64 v[20:21], v[28:29], s[8:9], v[4:5]
	v_add_f64 v[6:7], v[22:23], v[10:11]
	v_add_f64 v[10:11], v[22:23], -v[10:11]
	v_fma_f64 v[22:23], v[96:97], s[14:15], v[59:60]
	v_add_f64 v[4:5], v[20:21], v[8:9]
	v_add_f64 v[8:9], v[20:21], -v[8:9]
	v_fma_f64 v[20:21], v[83:84], s[16:17], v[55:56]
	v_fma_f64 v[22:23], v[85:86], s[12:13], v[22:23]
	;; [unrolled: 1-line block ×10, first 2 shown]
	v_mul_f64 v[16:17], v[12:13], s[16:17]
	v_mul_f64 v[12:13], v[12:13], s[18:19]
	v_fma_f64 v[16:17], v[14:15], s[18:19], v[16:17]
	v_fma_f64 v[18:19], v[14:15], s[14:15], v[12:13]
	v_add_f64 v[12:13], v[20:21], v[16:17]
	v_add_f64 v[16:17], v[20:21], -v[16:17]
	v_fma_f64 v[20:21], v[73:74], s[16:17], v[71:72]
	v_add_f64 v[14:15], v[22:23], v[18:19]
	v_add_f64 v[18:19], v[22:23], -v[18:19]
	v_fma_f64 v[22:23], v[81:82], s[14:15], v[53:54]
	v_fma_f64 v[20:21], v[75:76], s[12:13], v[20:21]
	;; [unrolled: 1-line block ×6, first 2 shown]
	v_mul_f64 v[24:25], v[20:21], s[12:13]
	v_mul_f64 v[20:21], v[20:21], s[20:21]
	v_fma_f64 v[24:25], v[22:23], s[20:21], v[24:25]
	v_fma_f64 v[26:27], v[22:23], s[6:7], v[20:21]
	s_mul_hi_u32 s6, s0, 0x1400
	v_add_f64 v[20:21], v[28:29], v[24:25]
	v_add_f64 v[22:23], v[30:31], v[26:27]
	v_add_f64 v[24:25], v[28:29], -v[24:25]
	v_add_f64 v[26:27], v[30:31], -v[26:27]
	ds_write_b128 v184, v[0:3]
	ds_write_b128 v184, v[45:48] offset:160
	ds_write_b128 v184, v[4:7] offset:320
	;; [unrolled: 1-line block ×9, first 2 shown]
	s_waitcnt lgkmcnt(0)
	s_barrier
	buffer_gl0_inv
	ds_read_b128 v[2:5], v40 offset:12800
	s_clause 0x3
	buffer_load_dword v6, off, s[28:31], 0 offset:328
	buffer_load_dword v7, off, s[28:31], 0 offset:332
	;; [unrolled: 1-line block ×4, first 2 shown]
	s_waitcnt vmcnt(0) lgkmcnt(0)
	v_mul_f64 v[0:1], v[8:9], v[4:5]
	v_fma_f64 v[0:1], v[6:7], v[2:3], v[0:1]
	v_mul_f64 v[2:3], v[8:9], v[2:3]
	v_fma_f64 v[2:3], v[6:7], v[4:5], -v[2:3]
	ds_read_b128 v[4:7], v40 offset:25600
	s_clause 0x3
	buffer_load_dword v10, off, s[28:31], 0 offset:344
	buffer_load_dword v11, off, s[28:31], 0 offset:348
	;; [unrolled: 1-line block ×4, first 2 shown]
	s_waitcnt vmcnt(0) lgkmcnt(0)
	v_mul_f64 v[8:9], v[12:13], v[6:7]
	v_fma_f64 v[32:33], v[10:11], v[4:5], v[8:9]
	v_mul_f64 v[4:5], v[12:13], v[4:5]
	v_fma_f64 v[34:35], v[10:11], v[6:7], -v[4:5]
	ds_read_b128 v[4:7], v40 offset:38400
	s_clause 0x3
	buffer_load_dword v10, off, s[28:31], 0 offset:360
	buffer_load_dword v11, off, s[28:31], 0 offset:364
	;; [unrolled: 1-line block ×4, first 2 shown]
	s_waitcnt vmcnt(0) lgkmcnt(0)
	v_mul_f64 v[8:9], v[12:13], v[6:7]
	v_fma_f64 v[36:37], v[10:11], v[4:5], v[8:9]
	v_mul_f64 v[4:5], v[12:13], v[4:5]
	v_add_f64 v[83:84], v[0:1], -v[36:37]
	v_fma_f64 v[38:39], v[10:11], v[6:7], -v[4:5]
	ds_read_b128 v[4:7], v40 offset:15360
	s_clause 0x3
	buffer_load_dword v10, off, s[28:31], 0 offset:520
	buffer_load_dword v11, off, s[28:31], 0 offset:524
	;; [unrolled: 1-line block ×4, first 2 shown]
	v_fma_f64 v[0:1], v[0:1], 2.0, -v[83:84]
	v_add_f64 v[81:82], v[2:3], -v[38:39]
	v_fma_f64 v[2:3], v[2:3], 2.0, -v[81:82]
	s_waitcnt vmcnt(0) lgkmcnt(0)
	v_mul_f64 v[8:9], v[12:13], v[6:7]
	v_fma_f64 v[53:54], v[10:11], v[4:5], v[8:9]
	v_mul_f64 v[4:5], v[12:13], v[4:5]
	v_fma_f64 v[55:56], v[10:11], v[6:7], -v[4:5]
	ds_read_b128 v[4:7], v40 offset:28160
	s_clause 0x3
	buffer_load_dword v10, off, s[28:31], 0 offset:536
	buffer_load_dword v11, off, s[28:31], 0 offset:540
	buffer_load_dword v12, off, s[28:31], 0 offset:544
	buffer_load_dword v13, off, s[28:31], 0 offset:548
	s_waitcnt vmcnt(0) lgkmcnt(0)
	v_mul_f64 v[8:9], v[12:13], v[6:7]
	v_fma_f64 v[57:58], v[10:11], v[4:5], v[8:9]
	v_mul_f64 v[4:5], v[12:13], v[4:5]
	v_fma_f64 v[59:60], v[10:11], v[6:7], -v[4:5]
	ds_read_b128 v[4:7], v40 offset:40960
	s_clause 0x3
	buffer_load_dword v10, off, s[28:31], 0 offset:552
	buffer_load_dword v11, off, s[28:31], 0 offset:556
	buffer_load_dword v12, off, s[28:31], 0 offset:560
	buffer_load_dword v13, off, s[28:31], 0 offset:564
	;; [unrolled: 11-line block ×5, first 2 shown]
	ds_read_b128 v[28:31], v40 offset:46080
	s_waitcnt lgkmcnt(0)
	v_mul_f64 v[18:19], v[202:203], v[28:29]
	v_fma_f64 v[18:19], v[200:201], v[30:31], -v[18:19]
	s_waitcnt vmcnt(0)
	v_mul_f64 v[12:13], v[16:17], v[6:7]
	v_fma_f64 v[24:25], v[14:15], v[4:5], v[12:13]
	v_mul_f64 v[4:5], v[16:17], v[4:5]
	v_add_f64 v[24:25], v[8:9], -v[24:25]
	v_fma_f64 v[26:27], v[14:15], v[6:7], -v[4:5]
	ds_read_b128 v[12:15], v40 offset:20480
	s_waitcnt lgkmcnt(0)
	v_mul_f64 v[6:7], v[194:195], v[12:13]
	v_mul_f64 v[4:5], v[194:195], v[14:15]
	v_add_f64 v[26:27], v[10:11], -v[26:27]
	v_fma_f64 v[6:7], v[192:193], v[14:15], -v[6:7]
	ds_read_b128 v[14:17], v40 offset:33280
	v_fma_f64 v[4:5], v[192:193], v[12:13], v[4:5]
	s_waitcnt lgkmcnt(0)
	v_mul_f64 v[12:13], v[198:199], v[16:17]
	v_add_f64 v[18:19], v[6:7], -v[18:19]
	v_fma_f64 v[12:13], v[196:197], v[14:15], v[12:13]
	v_mul_f64 v[14:15], v[198:199], v[14:15]
	v_fma_f64 v[14:15], v[196:197], v[16:17], -v[14:15]
	v_mul_f64 v[16:17], v[202:203], v[30:31]
	v_fma_f64 v[16:17], v[200:201], v[28:29], v[16:17]
	ds_read_b128 v[28:31], v40 offset:23040
	s_clause 0x3
	buffer_load_dword v43, off, s[28:31], 0 offset:616
	buffer_load_dword v44, off, s[28:31], 0 offset:620
	;; [unrolled: 1-line block ×4, first 2 shown]
	v_add_f64 v[16:17], v[4:5], -v[16:17]
	s_waitcnt vmcnt(0) lgkmcnt(0)
	v_mul_f64 v[41:42], v[45:46], v[30:31]
	v_fma_f64 v[65:66], v[43:44], v[28:29], v[41:42]
	v_mul_f64 v[28:29], v[45:46], v[28:29]
	v_fma_f64 v[67:68], v[43:44], v[30:31], -v[28:29]
	ds_read_b128 v[28:31], v40 offset:35840
	s_waitcnt lgkmcnt(0)
	v_mul_f64 v[41:42], v[206:207], v[30:31]
	v_fma_f64 v[69:70], v[204:205], v[28:29], v[41:42]
	v_mul_f64 v[28:29], v[206:207], v[28:29]
	v_fma_f64 v[71:72], v[204:205], v[30:31], -v[28:29]
	ds_read_b128 v[28:31], v40 offset:48640
	s_waitcnt lgkmcnt(0)
	v_mul_f64 v[41:42], v[210:211], v[30:31]
	v_fma_f64 v[73:74], v[208:209], v[28:29], v[41:42]
	v_mul_f64 v[28:29], v[210:211], v[28:29]
	v_fma_f64 v[75:76], v[208:209], v[30:31], -v[28:29]
	ds_read_b128 v[28:31], v40
	ds_read_b128 v[36:39], v40 offset:2560
	ds_read_b128 v[41:44], v40 offset:5120
	;; [unrolled: 1-line block ×4, first 2 shown]
	s_waitcnt lgkmcnt(0)
	s_barrier
	buffer_gl0_inv
	v_add_f64 v[20:21], v[41:42], -v[20:21]
	v_add_f64 v[32:33], v[28:29], -v[32:33]
	;; [unrolled: 1-line block ×4, first 2 shown]
	v_fma_f64 v[77:78], v[28:29], 2.0, -v[32:33]
	v_fma_f64 v[79:80], v[30:31], 2.0, -v[34:35]
	v_add_f64 v[28:29], v[32:33], v[81:82]
	v_add_f64 v[30:31], v[34:35], -v[83:84]
	v_add_f64 v[0:1], v[77:78], -v[0:1]
	;; [unrolled: 1-line block ×3, first 2 shown]
	v_fma_f64 v[32:33], v[32:33], 2.0, -v[28:29]
	v_fma_f64 v[34:35], v[34:35], 2.0, -v[30:31]
	ds_write_b128 v191, v[28:31] offset:4800
	ds_write_b128 v191, v[32:35] offset:1600
	v_add_f64 v[32:33], v[36:37], -v[57:58]
	v_fma_f64 v[28:29], v[77:78], 2.0, -v[0:1]
	v_fma_f64 v[30:31], v[79:80], 2.0, -v[2:3]
	ds_write_b128 v191, v[0:3] offset:3200
	ds_write_b128 v191, v[28:31]
	v_fma_f64 v[28:29], v[36:37], 2.0, -v[32:33]
	v_add_f64 v[36:37], v[53:54], -v[61:62]
	v_add_f64 v[34:35], v[38:39], -v[59:60]
	v_fma_f64 v[0:1], v[53:54], 2.0, -v[36:37]
	buffer_load_dword v53, off, s[28:31], 0 offset:644 ; 4-byte Folded Reload
	v_fma_f64 v[30:31], v[38:39], 2.0, -v[34:35]
	v_add_f64 v[38:39], v[55:56], -v[63:64]
	v_add_f64 v[0:1], v[28:29], -v[0:1]
	v_fma_f64 v[2:3], v[55:56], 2.0, -v[38:39]
	v_fma_f64 v[28:29], v[28:29], 2.0, -v[0:1]
	v_add_f64 v[2:3], v[30:31], -v[2:3]
	v_fma_f64 v[30:31], v[30:31], 2.0, -v[2:3]
	s_waitcnt vmcnt(0)
	ds_write_b128 v53, v[28:31]
	v_add_f64 v[28:29], v[32:33], v[38:39]
	v_add_f64 v[30:31], v[34:35], -v[36:37]
	v_fma_f64 v[32:33], v[32:33], 2.0, -v[28:29]
	v_fma_f64 v[34:35], v[34:35], 2.0, -v[30:31]
	ds_write_b128 v53, v[32:35] offset:1600
	ds_write_b128 v53, v[0:3] offset:3200
	;; [unrolled: 1-line block ×3, first 2 shown]
	v_fma_f64 v[28:29], v[41:42], 2.0, -v[20:21]
	v_fma_f64 v[30:31], v[43:44], 2.0, -v[22:23]
	;; [unrolled: 1-line block ×4, first 2 shown]
	v_add_f64 v[0:1], v[28:29], -v[0:1]
	v_add_f64 v[2:3], v[30:31], -v[2:3]
	v_fma_f64 v[8:9], v[28:29], 2.0, -v[0:1]
	v_fma_f64 v[10:11], v[30:31], 2.0, -v[2:3]
	ds_write_b128 v190, v[8:11]
	v_add_f64 v[8:9], v[20:21], v[26:27]
	v_add_f64 v[10:11], v[22:23], -v[24:25]
	v_fma_f64 v[20:21], v[20:21], 2.0, -v[8:9]
	v_fma_f64 v[22:23], v[22:23], 2.0, -v[10:11]
	ds_write_b128 v190, v[20:23] offset:1600
	ds_write_b128 v190, v[0:3] offset:3200
	;; [unrolled: 1-line block ×3, first 2 shown]
	v_add_f64 v[8:9], v[45:46], -v[12:13]
	v_add_f64 v[10:11], v[47:48], -v[14:15]
	v_fma_f64 v[0:1], v[4:5], 2.0, -v[16:17]
	v_fma_f64 v[2:3], v[6:7], 2.0, -v[18:19]
	;; [unrolled: 1-line block ×4, first 2 shown]
	v_add_f64 v[0:1], v[12:13], -v[0:1]
	v_add_f64 v[2:3], v[14:15], -v[2:3]
	v_fma_f64 v[4:5], v[12:13], 2.0, -v[0:1]
	v_fma_f64 v[6:7], v[14:15], 2.0, -v[2:3]
	v_add_f64 v[12:13], v[65:66], -v[73:74]
	v_add_f64 v[14:15], v[67:68], -v[75:76]
	ds_write_b128 v182, v[4:7]
	v_add_f64 v[4:5], v[8:9], v[18:19]
	v_add_f64 v[6:7], v[10:11], -v[16:17]
	v_fma_f64 v[8:9], v[8:9], 2.0, -v[4:5]
	v_fma_f64 v[10:11], v[10:11], 2.0, -v[6:7]
	ds_write_b128 v182, v[8:11] offset:1600
	ds_write_b128 v182, v[0:3] offset:3200
	;; [unrolled: 1-line block ×3, first 2 shown]
	v_add_f64 v[8:9], v[49:50], -v[69:70]
	v_add_f64 v[10:11], v[51:52], -v[71:72]
	v_fma_f64 v[0:1], v[65:66], 2.0, -v[12:13]
	v_fma_f64 v[2:3], v[67:68], 2.0, -v[14:15]
	;; [unrolled: 1-line block ×4, first 2 shown]
	v_add_f64 v[0:1], v[4:5], -v[0:1]
	v_add_f64 v[2:3], v[6:7], -v[2:3]
	v_fma_f64 v[4:5], v[4:5], 2.0, -v[0:1]
	v_fma_f64 v[6:7], v[6:7], 2.0, -v[2:3]
	ds_write_b128 v183, v[4:7]
	v_add_f64 v[4:5], v[8:9], v[14:15]
	v_add_f64 v[6:7], v[10:11], -v[12:13]
	v_fma_f64 v[8:9], v[8:9], 2.0, -v[4:5]
	v_fma_f64 v[10:11], v[10:11], 2.0, -v[6:7]
	ds_write_b128 v183, v[8:11] offset:1600
	ds_write_b128 v183, v[0:3] offset:3200
	;; [unrolled: 1-line block ×3, first 2 shown]
	s_waitcnt lgkmcnt(0)
	s_barrier
	buffer_gl0_inv
	ds_read_b128 v[0:3], v40 offset:12800
	s_waitcnt lgkmcnt(0)
	v_mul_f64 v[4:5], v[218:219], v[2:3]
	v_fma_f64 v[24:25], v[216:217], v[0:1], v[4:5]
	v_mul_f64 v[0:1], v[218:219], v[0:1]
	v_fma_f64 v[26:27], v[216:217], v[2:3], -v[0:1]
	ds_read_b128 v[0:3], v40 offset:25600
	s_waitcnt lgkmcnt(0)
	v_mul_f64 v[4:5], v[222:223], v[2:3]
	v_fma_f64 v[4:5], v[220:221], v[0:1], v[4:5]
	v_mul_f64 v[0:1], v[222:223], v[0:1]
	v_fma_f64 v[6:7], v[220:221], v[2:3], -v[0:1]
	ds_read_b128 v[0:3], v40 offset:38400
	s_waitcnt lgkmcnt(0)
	v_mul_f64 v[8:9], v[226:227], v[2:3]
	v_fma_f64 v[8:9], v[224:225], v[0:1], v[8:9]
	v_mul_f64 v[0:1], v[226:227], v[0:1]
	v_add_f64 v[83:84], v[24:25], -v[8:9]
	v_fma_f64 v[10:11], v[224:225], v[2:3], -v[0:1]
	ds_read_b128 v[0:3], v40 offset:15360
	s_waitcnt lgkmcnt(0)
	v_mul_f64 v[12:13], v[214:215], v[2:3]
	v_add_f64 v[81:82], v[26:27], -v[10:11]
	v_fma_f64 v[28:29], v[212:213], v[0:1], v[12:13]
	v_mul_f64 v[0:1], v[214:215], v[0:1]
	v_fma_f64 v[30:31], v[212:213], v[2:3], -v[0:1]
	ds_read_b128 v[0:3], v40 offset:28160
	s_waitcnt lgkmcnt(0)
	v_mul_f64 v[12:13], v[234:235], v[2:3]
	v_fma_f64 v[32:33], v[232:233], v[0:1], v[12:13]
	v_mul_f64 v[0:1], v[234:235], v[0:1]
	v_fma_f64 v[34:35], v[232:233], v[2:3], -v[0:1]
	ds_read_b128 v[0:3], v40 offset:40960
	s_waitcnt lgkmcnt(0)
	v_mul_f64 v[12:13], v[238:239], v[2:3]
	v_fma_f64 v[36:37], v[236:237], v[0:1], v[12:13]
	v_mul_f64 v[0:1], v[238:239], v[0:1]
	v_add_f64 v[36:37], v[28:29], -v[36:37]
	v_fma_f64 v[38:39], v[236:237], v[2:3], -v[0:1]
	ds_read_b128 v[0:3], v40 offset:17920
	s_waitcnt lgkmcnt(0)
	v_mul_f64 v[12:13], v[242:243], v[2:3]
	v_add_f64 v[38:39], v[30:31], -v[38:39]
	v_fma_f64 v[41:42], v[240:241], v[0:1], v[12:13]
	v_mul_f64 v[0:1], v[242:243], v[0:1]
	v_fma_f64 v[43:44], v[240:241], v[2:3], -v[0:1]
	ds_read_b128 v[0:3], v40 offset:30720
	s_waitcnt lgkmcnt(0)
	v_mul_f64 v[12:13], v[246:247], v[2:3]
	v_fma_f64 v[45:46], v[244:245], v[0:1], v[12:13]
	v_mul_f64 v[0:1], v[246:247], v[0:1]
	v_fma_f64 v[47:48], v[244:245], v[2:3], -v[0:1]
	ds_read_b128 v[0:3], v40 offset:43520
	s_waitcnt lgkmcnt(0)
	v_mul_f64 v[12:13], v[250:251], v[2:3]
	;; [unrolled: 6-line block ×8, first 2 shown]
	v_fma_f64 v[73:74], v[168:169], v[0:1], v[12:13]
	v_mul_f64 v[0:1], v[170:171], v[0:1]
	v_fma_f64 v[75:76], v[168:169], v[2:3], -v[0:1]
	ds_read_b128 v[0:3], v40
	ds_read_b128 v[8:11], v40 offset:2560
	ds_read_b128 v[12:15], v40 offset:5120
	;; [unrolled: 1-line block ×4, first 2 shown]
	s_waitcnt lgkmcnt(0)
	s_barrier
	buffer_gl0_inv
	v_add_f64 v[32:33], v[8:9], -v[32:33]
	v_add_f64 v[34:35], v[10:11], -v[34:35]
	v_add_f64 v[4:5], v[0:1], -v[4:5]
	v_add_f64 v[6:7], v[2:3], -v[6:7]
	v_fma_f64 v[85:86], v[8:9], 2.0, -v[32:33]
	v_fma_f64 v[96:97], v[10:11], 2.0, -v[34:35]
	;; [unrolled: 1-line block ×4, first 2 shown]
	v_add_f64 v[0:1], v[4:5], v[81:82]
	v_add_f64 v[2:3], v[6:7], -v[83:84]
	v_fma_f64 v[4:5], v[4:5], 2.0, -v[0:1]
	v_fma_f64 v[6:7], v[6:7], 2.0, -v[2:3]
	ds_write_b128 v40, v[0:3] offset:19200
	v_add_f64 v[0:1], v[32:33], v[38:39]
	v_add_f64 v[2:3], v[34:35], -v[36:37]
	ds_write_b128 v40, v[0:3] offset:21760
	ds_write_b128 v40, v[4:7] offset:6400
	v_fma_f64 v[8:9], v[32:33], 2.0, -v[0:1]
	v_fma_f64 v[10:11], v[34:35], 2.0, -v[2:3]
	;; [unrolled: 1-line block ×4, first 2 shown]
	v_add_f64 v[0:1], v[77:78], -v[0:1]
	v_add_f64 v[2:3], v[79:80], -v[2:3]
	ds_write_b128 v40, v[0:3] offset:12800
	ds_write_b128 v40, v[8:11] offset:8960
	v_fma_f64 v[4:5], v[77:78], 2.0, -v[0:1]
	v_fma_f64 v[6:7], v[79:80], 2.0, -v[2:3]
	;; [unrolled: 1-line block ×4, first 2 shown]
	v_add_f64 v[0:1], v[85:86], -v[0:1]
	v_add_f64 v[2:3], v[96:97], -v[2:3]
	v_fma_f64 v[8:9], v[85:86], 2.0, -v[0:1]
	v_fma_f64 v[10:11], v[96:97], 2.0, -v[2:3]
	ds_write_b128 v40, v[0:3] offset:15360
	ds_write_b128 v40, v[4:7]
	ds_write_b128 v40, v[8:11] offset:2560
	buffer_load_dword v24, off, s[28:31], 0 offset:648 ; 4-byte Folded Reload
	v_add_f64 v[8:9], v[12:13], -v[45:46]
	v_add_f64 v[10:11], v[14:15], -v[47:48]
	v_fma_f64 v[4:5], v[12:13], 2.0, -v[8:9]
	v_fma_f64 v[6:7], v[14:15], 2.0, -v[10:11]
	v_add_f64 v[12:13], v[41:42], -v[49:50]
	v_add_f64 v[14:15], v[43:44], -v[51:52]
	v_fma_f64 v[0:1], v[41:42], 2.0, -v[12:13]
	v_fma_f64 v[2:3], v[43:44], 2.0, -v[14:15]
	;; [unrolled: 4-line block ×3, first 2 shown]
	s_waitcnt vmcnt(0)
	ds_write_b128 v24, v[4:7]
	v_add_f64 v[4:5], v[8:9], v[14:15]
	v_add_f64 v[6:7], v[10:11], -v[12:13]
	v_add_f64 v[12:13], v[53:54], -v[61:62]
	;; [unrolled: 1-line block ×3, first 2 shown]
	v_fma_f64 v[8:9], v[8:9], 2.0, -v[4:5]
	v_fma_f64 v[10:11], v[10:11], 2.0, -v[6:7]
	ds_write_b128 v24, v[8:11] offset:6400
	ds_write_b128 v24, v[0:3] offset:12800
	;; [unrolled: 1-line block ×3, first 2 shown]
	v_add_f64 v[8:9], v[16:17], -v[57:58]
	v_add_f64 v[10:11], v[18:19], -v[59:60]
	v_fma_f64 v[0:1], v[53:54], 2.0, -v[12:13]
	v_fma_f64 v[2:3], v[55:56], 2.0, -v[14:15]
	;; [unrolled: 1-line block ×4, first 2 shown]
	v_add_f64 v[0:1], v[4:5], -v[0:1]
	v_add_f64 v[2:3], v[6:7], -v[2:3]
	v_fma_f64 v[4:5], v[4:5], 2.0, -v[0:1]
	v_fma_f64 v[6:7], v[6:7], 2.0, -v[2:3]
	ds_write_b128 v40, v[4:7] offset:26880
	v_add_f64 v[4:5], v[8:9], v[14:15]
	v_add_f64 v[6:7], v[10:11], -v[12:13]
	v_add_f64 v[12:13], v[65:66], -v[73:74]
	;; [unrolled: 1-line block ×3, first 2 shown]
	v_fma_f64 v[8:9], v[8:9], 2.0, -v[4:5]
	v_fma_f64 v[10:11], v[10:11], 2.0, -v[6:7]
	ds_write_b128 v40, v[8:11] offset:33280
	ds_write_b128 v40, v[0:3] offset:39680
	;; [unrolled: 1-line block ×3, first 2 shown]
	v_add_f64 v[8:9], v[20:21], -v[69:70]
	v_add_f64 v[10:11], v[22:23], -v[71:72]
	v_fma_f64 v[0:1], v[65:66], 2.0, -v[12:13]
	v_fma_f64 v[2:3], v[67:68], 2.0, -v[14:15]
	;; [unrolled: 1-line block ×4, first 2 shown]
	v_add_f64 v[0:1], v[4:5], -v[0:1]
	v_add_f64 v[2:3], v[6:7], -v[2:3]
	v_fma_f64 v[4:5], v[4:5], 2.0, -v[0:1]
	v_fma_f64 v[6:7], v[6:7], 2.0, -v[2:3]
	ds_write_b128 v40, v[4:7] offset:29440
	v_add_f64 v[4:5], v[8:9], v[14:15]
	v_add_f64 v[6:7], v[10:11], -v[12:13]
	v_fma_f64 v[8:9], v[8:9], 2.0, -v[4:5]
	v_fma_f64 v[10:11], v[10:11], 2.0, -v[6:7]
	ds_write_b128 v40, v[8:11] offset:35840
	ds_write_b128 v40, v[0:3] offset:42240
	;; [unrolled: 1-line block ×3, first 2 shown]
	s_waitcnt lgkmcnt(0)
	s_barrier
	buffer_gl0_inv
	ds_read_b128 v[0:3], v40 offset:25600
	ds_read_b128 v[16:19], v40 offset:5120
	;; [unrolled: 1-line block ×9, first 2 shown]
	s_waitcnt lgkmcnt(8)
	v_mul_f64 v[4:5], v[166:167], v[2:3]
	v_fma_f64 v[4:5], v[164:165], v[0:1], v[4:5]
	v_mul_f64 v[0:1], v[166:167], v[0:1]
	v_fma_f64 v[6:7], v[164:165], v[2:3], -v[0:1]
	ds_read_b128 v[0:3], v40 offset:28160
	s_waitcnt lgkmcnt(0)
	v_mul_f64 v[8:9], v[162:163], v[2:3]
	v_fma_f64 v[12:13], v[160:161], v[0:1], v[8:9]
	v_mul_f64 v[0:1], v[162:163], v[0:1]
	v_fma_f64 v[14:15], v[160:161], v[2:3], -v[0:1]
	ds_read_b128 v[0:3], v40 offset:30720
	s_waitcnt lgkmcnt(0)
	v_mul_f64 v[8:9], v[158:159], v[2:3]
	v_fma_f64 v[20:21], v[156:157], v[0:1], v[8:9]
	v_mul_f64 v[0:1], v[158:159], v[0:1]
	v_add_f64 v[20:21], v[16:17], -v[20:21]
	v_fma_f64 v[22:23], v[156:157], v[2:3], -v[0:1]
	ds_read_b128 v[0:3], v40 offset:33280
	s_waitcnt lgkmcnt(0)
	v_mul_f64 v[8:9], v[154:155], v[2:3]
	v_add_f64 v[22:23], v[18:19], -v[22:23]
	v_fma_f64 v[16:17], v[16:17], 2.0, -v[20:21]
	v_fma_f64 v[28:29], v[152:153], v[0:1], v[8:9]
	v_mul_f64 v[0:1], v[154:155], v[0:1]
	v_fma_f64 v[18:19], v[18:19], 2.0, -v[22:23]
	v_add_f64 v[28:29], v[24:25], -v[28:29]
	v_fma_f64 v[30:31], v[152:153], v[2:3], -v[0:1]
	ds_read_b128 v[0:3], v40 offset:35840
	s_waitcnt lgkmcnt(0)
	v_mul_f64 v[8:9], v[150:151], v[2:3]
	v_add_f64 v[30:31], v[26:27], -v[30:31]
	v_fma_f64 v[24:25], v[24:25], 2.0, -v[28:29]
	v_fma_f64 v[36:37], v[148:149], v[0:1], v[8:9]
	v_mul_f64 v[0:1], v[150:151], v[0:1]
	v_fma_f64 v[26:27], v[26:27], 2.0, -v[30:31]
	;; [unrolled: 10-line block ×6, first 2 shown]
	v_add_f64 v[69:70], v[65:66], -v[69:70]
	v_fma_f64 v[71:72], v[92:93], v[2:3], -v[0:1]
	ds_read_b128 v[0:3], v40 offset:48640
	s_waitcnt lgkmcnt(0)
	v_mul_f64 v[8:9], v[90:91], v[2:3]
	v_add_f64 v[71:72], v[67:68], -v[71:72]
	v_fma_f64 v[65:66], v[65:66], 2.0, -v[69:70]
	v_fma_f64 v[77:78], v[88:89], v[0:1], v[8:9]
	v_mul_f64 v[0:1], v[90:91], v[0:1]
	ds_read_b128 v[8:11], v40 offset:2560
	v_fma_f64 v[67:68], v[67:68], 2.0, -v[71:72]
	s_waitcnt lgkmcnt(0)
	v_add_f64 v[12:13], v[8:9], -v[12:13]
	v_fma_f64 v[79:80], v[88:89], v[2:3], -v[0:1]
	ds_read_b128 v[0:3], v40
	v_add_f64 v[14:15], v[10:11], -v[14:15]
	v_add_f64 v[77:78], v[73:74], -v[77:78]
	s_waitcnt lgkmcnt(0)
	v_add_f64 v[4:5], v[0:1], -v[4:5]
	v_add_f64 v[6:7], v[2:3], -v[6:7]
	;; [unrolled: 1-line block ×3, first 2 shown]
	v_fma_f64 v[8:9], v[8:9], 2.0, -v[12:13]
	v_fma_f64 v[10:11], v[10:11], 2.0, -v[14:15]
	;; [unrolled: 1-line block ×6, first 2 shown]
	ds_write_b128 v40, v[4:7] offset:25600
	ds_write_b128 v40, v[12:15] offset:28160
	;; [unrolled: 1-line block ×10, first 2 shown]
	ds_write_b128 v40, v[0:3]
	ds_write_b128 v40, v[8:11] offset:2560
	ds_write_b128 v40, v[16:19] offset:5120
	;; [unrolled: 1-line block ×9, first 2 shown]
	s_waitcnt lgkmcnt(0)
	s_barrier
	buffer_gl0_inv
	ds_read_b128 v[2:5], v40
	s_clause 0x3
	buffer_load_dword v6, off, s[28:31], 0 offset:312
	buffer_load_dword v7, off, s[28:31], 0 offset:316
	buffer_load_dword v8, off, s[28:31], 0 offset:320
	buffer_load_dword v9, off, s[28:31], 0 offset:324
	s_waitcnt vmcnt(0) lgkmcnt(0)
	v_mul_f64 v[0:1], v[8:9], v[4:5]
	v_fma_f64 v[0:1], v[6:7], v[2:3], v[0:1]
	v_mul_f64 v[2:3], v[8:9], v[2:3]
	v_fma_f64 v[2:3], v[6:7], v[4:5], -v[2:3]
	ds_read_b128 v[4:7], v40 offset:5120
	s_clause 0x3
	buffer_load_dword v10, off, s[28:31], 0 offset:72
	buffer_load_dword v11, off, s[28:31], 0 offset:76
	buffer_load_dword v12, off, s[28:31], 0 offset:80
	buffer_load_dword v13, off, s[28:31], 0 offset:84
	s_waitcnt vmcnt(0) lgkmcnt(0)
	v_mul_f64 v[8:9], v[12:13], v[6:7]
	v_fma_f64 v[72:73], v[10:11], v[4:5], v[8:9]
	v_mul_f64 v[4:5], v[12:13], v[4:5]
	v_fma_f64 v[74:75], v[10:11], v[6:7], -v[4:5]
	ds_read_b128 v[4:7], v40 offset:10240
	;; [unrolled: 11-line block ×16, first 2 shown]
	s_clause 0x3
	buffer_load_dword v76, off, s[28:31], 0 offset:264
	buffer_load_dword v77, off, s[28:31], 0 offset:268
	buffer_load_dword v78, off, s[28:31], 0 offset:272
	buffer_load_dword v79, off, s[28:31], 0 offset:276
	s_waitcnt vmcnt(0) lgkmcnt(0)
	v_mul_f64 v[36:37], v[78:79], v[43:44]
	v_mul_f64 v[38:39], v[78:79], v[41:42]
	v_fma_f64 v[36:37], v[76:77], v[41:42], v[36:37]
	v_fma_f64 v[38:39], v[76:77], v[43:44], -v[38:39]
	ds_read_b128 v[41:44], v40 offset:38400
	s_clause 0x3
	buffer_load_dword v78, off, s[28:31], 0 offset:280
	buffer_load_dword v79, off, s[28:31], 0 offset:284
	;; [unrolled: 1-line block ×4, first 2 shown]
	s_waitcnt vmcnt(0) lgkmcnt(0)
	v_mul_f64 v[45:46], v[80:81], v[43:44]
	v_fma_f64 v[76:77], v[78:79], v[41:42], v[45:46]
	v_mul_f64 v[41:42], v[80:81], v[41:42]
	v_fma_f64 v[42:43], v[78:79], v[43:44], -v[41:42]
	ds_read_b128 v[78:81], v40 offset:43520
	s_clause 0x3
	buffer_load_dword v82, off, s[28:31], 0 offset:296
	buffer_load_dword v83, off, s[28:31], 0 offset:300
	;; [unrolled: 1-line block ×4, first 2 shown]
	s_waitcnt vmcnt(0) lgkmcnt(0)
	v_mul_f64 v[44:45], v[84:85], v[80:81]
	v_mul_f64 v[46:47], v[84:85], v[78:79]
	v_fma_f64 v[44:45], v[82:83], v[78:79], v[44:45]
	v_fma_f64 v[46:47], v[82:83], v[80:81], -v[46:47]
	ds_read_b128 v[78:81], v40 offset:48640
	s_clause 0x3
	buffer_load_dword v84, off, s[28:31], 0 offset:8
	buffer_load_dword v85, off, s[28:31], 0 offset:12
	;; [unrolled: 1-line block ×4, first 2 shown]
	s_waitcnt vmcnt(0) lgkmcnt(0)
	v_mul_f64 v[40:41], v[86:87], v[80:81]
	v_fma_f64 v[82:83], v[84:85], v[78:79], v[40:41]
	v_mul_f64 v[40:41], v[86:87], v[78:79]
	v_fma_f64 v[78:79], v[84:85], v[80:81], -v[40:41]
	s_clause 0x2
	buffer_load_dword v80, off, s[28:31], 0 offset:632
	buffer_load_dword v81, off, s[28:31], 0 offset:636
	buffer_load_dword v84, off, s[28:31], 0 offset:640
	s_waitcnt vmcnt(2)
	v_mad_u64_u32 v[40:41], null, s2, v80, 0
	s_waitcnt vmcnt(1)
	v_mad_u64_u32 v[80:81], null, s3, v80, v[41:42]
	s_mov_b32 s2, 0x47ae147b
	s_mov_b32 s3, 0x3f347ae1
	v_mul_f64 v[0:1], v[0:1], s[2:3]
	v_mul_f64 v[2:3], v[2:3], s[2:3]
	;; [unrolled: 1-line block ×3, first 2 shown]
	v_mov_b32_e32 v41, v80
	s_waitcnt vmcnt(0)
	v_mad_u64_u32 v[80:81], null, s0, v84, 0
	v_mul_f64 v[54:55], v[54:55], s[2:3]
	v_lshlrev_b64 v[40:41], 4, v[40:41]
	v_mad_u64_u32 v[84:85], null, s1, v84, v[81:82]
	v_mov_b32_e32 v81, v84
	v_add_co_u32 v84, vcc_lo, s4, v40
	v_add_co_ci_u32_e32 v85, vcc_lo, s5, v41, vcc_lo
	v_lshlrev_b64 v[40:41], 4, v[80:81]
	s_mul_i32 s5, s1, 0x1400
	s_mul_i32 s4, s0, 0x1400
	s_add_i32 s5, s6, s5
	s_mul_i32 s6, s1, 0x2800
	v_add_co_u32 v40, vcc_lo, v84, v40
	v_add_co_ci_u32_e32 v41, vcc_lo, v85, v41, vcc_lo
	global_store_dwordx4 v[40:41], v[0:3], off
	v_mul_f64 v[0:1], v[72:73], s[2:3]
	v_mul_f64 v[2:3], v[74:75], s[2:3]
	v_add_co_u32 v40, vcc_lo, v40, s4
	v_add_co_ci_u32_e32 v41, vcc_lo, s5, v41, vcc_lo
	global_store_dwordx4 v[40:41], v[0:3], off
	v_mul_f64 v[0:1], v[68:69], s[2:3]
	v_mul_f64 v[2:3], v[70:71], s[2:3]
	;; [unrolled: 5-line block ×3, first 2 shown]
	v_add_co_u32 v40, vcc_lo, v40, s4
	v_add_co_ci_u32_e32 v41, vcc_lo, s5, v41, vcc_lo
	global_store_dwordx4 v[40:41], v[0:3], off
	v_mul_f64 v[2:3], v[62:63], s[2:3]
	buffer_load_dword v62, off, s[28:31], 0 offset:4 ; 4-byte Folded Reload
	v_mul_f64 v[0:1], v[60:61], s[2:3]
	v_mad_u64_u32 v[40:41], null, 0x2800, s0, v[40:41]
	v_add_nc_u32_e32 v41, s6, v41
	s_waitcnt vmcnt(0)
	v_mad_u64_u32 v[60:61], null, s0, v62, 0
	v_mad_u64_u32 v[61:62], null, s1, v62, v[61:62]
	buffer_load_dword v62, off, s[28:31], 0 ; 4-byte Folded Reload
	v_lshlrev_b64 v[60:61], 4, v[60:61]
	v_add_co_u32 v60, vcc_lo, v84, v60
	v_add_co_ci_u32_e32 v61, vcc_lo, v85, v61, vcc_lo
	global_store_dwordx4 v[60:61], v[0:3], off
	v_mul_f64 v[0:1], v[56:57], s[2:3]
	v_add_co_u32 v56, vcc_lo, v40, s4
	v_add_co_ci_u32_e32 v57, vcc_lo, s5, v41, vcc_lo
	v_mul_f64 v[2:3], v[58:59], s[2:3]
	v_add_co_u32 v58, vcc_lo, v56, s4
	v_add_co_ci_u32_e32 v59, vcc_lo, s5, v57, vcc_lo
	v_mad_u64_u32 v[60:61], null, 0x2800, s0, v[58:59]
	v_add_nc_u32_e32 v61, s6, v61
	s_mul_i32 s6, s1, 0xffff5600
	global_store_dwordx4 v[40:41], v[0:3], off
	global_store_dwordx4 v[56:57], v[52:55], off
	v_mad_u64_u32 v[52:53], null, 0xffff5600, s0, v[60:61]
	v_mul_f64 v[0:1], v[48:49], s[2:3]
	v_mul_f64 v[2:3], v[50:51], s[2:3]
	global_store_dwordx4 v[58:59], v[0:3], off
	v_mul_f64 v[0:1], v[4:5], s[2:3]
	v_mul_f64 v[2:3], v[6:7], s[2:3]
	;; [unrolled: 1-line block ×20, first 2 shown]
	s_waitcnt vmcnt(0)
	v_mad_u64_u32 v[40:41], null, s0, v62, 0
	s_sub_i32 s0, s6, s0
	v_add_nc_u32_e32 v53, s0, v53
	v_mad_u64_u32 v[48:49], null, s1, v62, v[41:42]
	v_add_co_u32 v49, vcc_lo, v52, s4
	v_add_co_ci_u32_e32 v50, vcc_lo, s5, v53, vcc_lo
	v_mul_f64 v[42:43], v[46:47], s[2:3]
	v_add_co_u32 v54, vcc_lo, v49, s4
	v_add_co_ci_u32_e32 v55, vcc_lo, s5, v50, vcc_lo
	v_mov_b32_e32 v41, v48
	v_add_co_u32 v56, vcc_lo, v54, s4
	v_add_co_ci_u32_e32 v57, vcc_lo, s5, v55, vcc_lo
	v_lshlrev_b64 v[40:41], 4, v[40:41]
	v_add_co_u32 v58, vcc_lo, v56, s4
	v_add_co_ci_u32_e32 v59, vcc_lo, s5, v57, vcc_lo
	v_mul_f64 v[46:47], v[78:79], s[2:3]
	v_add_co_u32 v64, s0, v58, s4
	v_add_co_u32 v62, vcc_lo, v84, v40
	v_add_co_ci_u32_e64 v65, s0, s5, v59, s0
	v_add_co_ci_u32_e32 v63, vcc_lo, v85, v41, vcc_lo
	v_add_co_u32 v66, vcc_lo, v64, s4
	v_add_co_ci_u32_e32 v67, vcc_lo, s5, v65, vcc_lo
	v_mul_f64 v[40:41], v[44:45], s[2:3]
	v_mul_f64 v[44:45], v[82:83], s[2:3]
	v_add_co_u32 v68, vcc_lo, v66, s4
	v_add_co_ci_u32_e32 v69, vcc_lo, s5, v67, vcc_lo
	global_store_dwordx4 v[62:63], v[0:3], off
	v_add_co_u32 v0, vcc_lo, v68, s4
	v_add_co_ci_u32_e32 v1, vcc_lo, s5, v69, vcc_lo
	v_add_co_u32 v2, vcc_lo, v0, s4
	v_add_co_ci_u32_e32 v3, vcc_lo, s5, v1, vcc_lo
	global_store_dwordx4 v[60:61], v[4:7], off
	global_store_dwordx4 v[52:53], v[8:11], off
	;; [unrolled: 1-line block ×11, first 2 shown]
.LBB0_2:
	s_endpgm
	.section	.rodata,"a",@progbits
	.p2align	6, 0x0
	.amdhsa_kernel bluestein_single_back_len3200_dim1_dp_op_CI_CI
		.amdhsa_group_segment_fixed_size 51200
		.amdhsa_private_segment_fixed_size 656
		.amdhsa_kernarg_size 104
		.amdhsa_user_sgpr_count 6
		.amdhsa_user_sgpr_private_segment_buffer 1
		.amdhsa_user_sgpr_dispatch_ptr 0
		.amdhsa_user_sgpr_queue_ptr 0
		.amdhsa_user_sgpr_kernarg_segment_ptr 1
		.amdhsa_user_sgpr_dispatch_id 0
		.amdhsa_user_sgpr_flat_scratch_init 0
		.amdhsa_user_sgpr_private_segment_size 0
		.amdhsa_wavefront_size32 1
		.amdhsa_uses_dynamic_stack 0
		.amdhsa_system_sgpr_private_segment_wavefront_offset 1
		.amdhsa_system_sgpr_workgroup_id_x 1
		.amdhsa_system_sgpr_workgroup_id_y 0
		.amdhsa_system_sgpr_workgroup_id_z 0
		.amdhsa_system_sgpr_workgroup_info 0
		.amdhsa_system_vgpr_workitem_id 0
		.amdhsa_next_free_vgpr 256
		.amdhsa_next_free_sgpr 32
		.amdhsa_reserve_vcc 1
		.amdhsa_reserve_flat_scratch 0
		.amdhsa_float_round_mode_32 0
		.amdhsa_float_round_mode_16_64 0
		.amdhsa_float_denorm_mode_32 3
		.amdhsa_float_denorm_mode_16_64 3
		.amdhsa_dx10_clamp 1
		.amdhsa_ieee_mode 1
		.amdhsa_fp16_overflow 0
		.amdhsa_workgroup_processor_mode 1
		.amdhsa_memory_ordered 1
		.amdhsa_forward_progress 0
		.amdhsa_shared_vgpr_count 0
		.amdhsa_exception_fp_ieee_invalid_op 0
		.amdhsa_exception_fp_denorm_src 0
		.amdhsa_exception_fp_ieee_div_zero 0
		.amdhsa_exception_fp_ieee_overflow 0
		.amdhsa_exception_fp_ieee_underflow 0
		.amdhsa_exception_fp_ieee_inexact 0
		.amdhsa_exception_int_div_zero 0
	.end_amdhsa_kernel
	.text
.Lfunc_end0:
	.size	bluestein_single_back_len3200_dim1_dp_op_CI_CI, .Lfunc_end0-bluestein_single_back_len3200_dim1_dp_op_CI_CI
                                        ; -- End function
	.section	.AMDGPU.csdata,"",@progbits
; Kernel info:
; codeLenInByte = 30612
; NumSgprs: 34
; NumVgprs: 256
; ScratchSize: 656
; MemoryBound: 0
; FloatMode: 240
; IeeeMode: 1
; LDSByteSize: 51200 bytes/workgroup (compile time only)
; SGPRBlocks: 4
; VGPRBlocks: 31
; NumSGPRsForWavesPerEU: 34
; NumVGPRsForWavesPerEU: 256
; Occupancy: 3
; WaveLimiterHint : 1
; COMPUTE_PGM_RSRC2:SCRATCH_EN: 1
; COMPUTE_PGM_RSRC2:USER_SGPR: 6
; COMPUTE_PGM_RSRC2:TRAP_HANDLER: 0
; COMPUTE_PGM_RSRC2:TGID_X_EN: 1
; COMPUTE_PGM_RSRC2:TGID_Y_EN: 0
; COMPUTE_PGM_RSRC2:TGID_Z_EN: 0
; COMPUTE_PGM_RSRC2:TIDIG_COMP_CNT: 0
	.text
	.p2alignl 6, 3214868480
	.fill 48, 4, 3214868480
	.type	__hip_cuid_2d2a529fd39f1ee9,@object ; @__hip_cuid_2d2a529fd39f1ee9
	.section	.bss,"aw",@nobits
	.globl	__hip_cuid_2d2a529fd39f1ee9
__hip_cuid_2d2a529fd39f1ee9:
	.byte	0                               ; 0x0
	.size	__hip_cuid_2d2a529fd39f1ee9, 1

	.ident	"AMD clang version 19.0.0git (https://github.com/RadeonOpenCompute/llvm-project roc-6.4.0 25133 c7fe45cf4b819c5991fe208aaa96edf142730f1d)"
	.section	".note.GNU-stack","",@progbits
	.addrsig
	.addrsig_sym __hip_cuid_2d2a529fd39f1ee9
	.amdgpu_metadata
---
amdhsa.kernels:
  - .args:
      - .actual_access:  read_only
        .address_space:  global
        .offset:         0
        .size:           8
        .value_kind:     global_buffer
      - .actual_access:  read_only
        .address_space:  global
        .offset:         8
        .size:           8
        .value_kind:     global_buffer
      - .actual_access:  read_only
        .address_space:  global
        .offset:         16
        .size:           8
        .value_kind:     global_buffer
      - .actual_access:  read_only
        .address_space:  global
        .offset:         24
        .size:           8
        .value_kind:     global_buffer
      - .actual_access:  read_only
        .address_space:  global
        .offset:         32
        .size:           8
        .value_kind:     global_buffer
      - .offset:         40
        .size:           8
        .value_kind:     by_value
      - .address_space:  global
        .offset:         48
        .size:           8
        .value_kind:     global_buffer
      - .address_space:  global
        .offset:         56
        .size:           8
        .value_kind:     global_buffer
      - .address_space:  global
        .offset:         64
        .size:           8
        .value_kind:     global_buffer
      - .address_space:  global
        .offset:         72
        .size:           8
        .value_kind:     global_buffer
      - .offset:         80
        .size:           4
        .value_kind:     by_value
      - .address_space:  global
        .offset:         88
        .size:           8
        .value_kind:     global_buffer
      - .address_space:  global
        .offset:         96
        .size:           8
        .value_kind:     global_buffer
    .group_segment_fixed_size: 51200
    .kernarg_segment_align: 8
    .kernarg_segment_size: 104
    .language:       OpenCL C
    .language_version:
      - 2
      - 0
    .max_flat_workgroup_size: 160
    .name:           bluestein_single_back_len3200_dim1_dp_op_CI_CI
    .private_segment_fixed_size: 656
    .sgpr_count:     34
    .sgpr_spill_count: 0
    .symbol:         bluestein_single_back_len3200_dim1_dp_op_CI_CI.kd
    .uniform_work_group_size: 1
    .uses_dynamic_stack: false
    .vgpr_count:     256
    .vgpr_spill_count: 163
    .wavefront_size: 32
    .workgroup_processor_mode: 1
amdhsa.target:   amdgcn-amd-amdhsa--gfx1030
amdhsa.version:
  - 1
  - 2
...

	.end_amdgpu_metadata
